;; amdgpu-corpus repo=UoB-HPC/miniBUDE kind=compiled arch=gfx906 opt=O3
	.amdgcn_target "amdgcn-amd-amdhsa--gfx906"
	.amdhsa_code_object_version 6
	.section	.text._ZL11fasten_mainILm1EEviiPK4AtomS2_PKfS4_S4_S4_S4_S4_PfPK8FFParamsi,"axG",@progbits,_ZL11fasten_mainILm1EEviiPK4AtomS2_PKfS4_S4_S4_S4_S4_PfPK8FFParamsi,comdat
	.globl	_ZL11fasten_mainILm1EEviiPK4AtomS2_PKfS4_S4_S4_S4_S4_PfPK8FFParamsi ; -- Begin function _ZL11fasten_mainILm1EEviiPK4AtomS2_PKfS4_S4_S4_S4_S4_PfPK8FFParamsi
	.p2align	8
	.type	_ZL11fasten_mainILm1EEviiPK4AtomS2_PKfS4_S4_S4_S4_S4_PfPK8FFParamsi,@function
_ZL11fasten_mainILm1EEviiPK4AtomS2_PKfS4_S4_S4_S4_S4_PfPK8FFParamsi: ; @_ZL11fasten_mainILm1EEviiPK4AtomS2_PKfS4_S4_S4_S4_S4_PfPK8FFParamsi
; %bb.0:
	s_load_dword s1, s[4:5], 0x6c
	s_load_dword s0, s[4:5], 0x58
	s_load_dwordx16 s[36:51], s[4:5], 0x8
	v_mov_b32_e32 v6, 0
	s_mov_b32 s12, 0x3c439041
	s_waitcnt lgkmcnt(0)
	s_and_b32 s1, s1, 0xffff
	s_mul_i32 s6, s6, s1
	v_add_u32_e32 v4, s6, v0
	s_add_i32 s1, s0, -1
	v_mov_b32_e32 v0, s1
	v_cmp_gt_i32_e64 s[0:1], s0, v4
	v_cndmask_b32_e64 v0, v0, v4, s[0:1]
	v_ashrrev_i32_e32 v1, 31, v0
	v_lshlrev_b64 v[7:8], 2, v[0:1]
	v_mov_b32_e32 v1, s41
	v_add_co_u32_e32 v0, vcc, s40, v7
	v_addc_co_u32_e32 v1, vcc, v1, v8, vcc
	global_load_dword v12, v[0:1], off
	v_mov_b32_e32 v1, s43
	v_add_co_u32_e32 v0, vcc, s42, v7
	v_addc_co_u32_e32 v1, vcc, v1, v8, vcc
	global_load_dword v13, v[0:1], off
	;; [unrolled: 4-line block ×3, first 2 shown]
	v_mov_b32_e32 v0, s47
	v_add_co_u32_e32 v2, vcc, s46, v7
	v_addc_co_u32_e32 v3, vcc, v0, v8, vcc
	v_mov_b32_e32 v1, s49
	v_add_co_u32_e32 v0, vcc, s48, v7
	v_addc_co_u32_e32 v1, vcc, v1, v8, vcc
	;; [unrolled: 3-line block ×3, first 2 shown]
	s_mov_b32 s6, 0xfe5163ab
	s_mov_b32 s13, 0xdb629599
	;; [unrolled: 1-line block ×3, first 2 shown]
	v_not_b32_e32 v16, 63
	v_not_b32_e32 v10, 31
	s_mov_b32 s15, 0xfc2757d1
	s_mov_b32 s16, 0x4e441529
	;; [unrolled: 1-line block ×3, first 2 shown]
	s_load_dwordx4 s[24:27], s[4:5], 0x48
	s_mov_b32 s23, 0
	s_load_dwordx2 s[4:5], s[4:5], 0x0
	s_movk_i32 s35, 0x46
	s_mov_b32 s22, s23
	s_waitcnt lgkmcnt(0)
	s_max_i32 s33, s5, 1
	s_max_i32 s34, s4, 1
	s_add_u32 s28, s36, 8
	s_addc_u32 s29, s37, 0
	s_movk_i32 s36, 0x45
	s_mov_b32 s37, 0xf800000
	s_waitcnt vmcnt(2)
	v_and_b32_e32 v9, 0x7fffffff, v12
	v_and_b32_e32 v5, 0x7fffff, v9
	v_or_b32_e32 v28, 0x800000, v5
	v_mad_u64_u32 v[17:18], s[2:3], v28, s6, 0
	v_lshrrev_b32_e32 v19, 23, v9
	v_add_u32_e32 v27, 0xffffff88, v19
	v_mov_b32_e32 v5, v18
	v_mad_u64_u32 v[18:19], s[2:3], v28, s12, v[5:6]
	s_waitcnt vmcnt(1)
	v_and_b32_e32 v15, 0x7fffffff, v13
	v_and_b32_e32 v20, 0x7fffff, v15
	v_mov_b32_e32 v5, v19
	v_or_b32_e32 v31, 0x800000, v20
	v_mad_u64_u32 v[19:20], s[2:3], v28, s13, v[5:6]
	s_waitcnt vmcnt(0)
	v_and_b32_e32 v14, 0x7fffffff, v11
	v_and_b32_e32 v22, 0x7fffff, v14
	v_mov_b32_e32 v5, v20
	v_cmp_lt_u32_e32 vcc, 63, v27
	v_lshrrev_b32_e32 v21, 23, v15
	v_or_b32_e32 v34, 0x800000, v22
	v_cndmask_b32_e32 v20, v19, v17, vcc
	v_cndmask_b32_e32 v17, 0, v16, vcc
	v_mad_u64_u32 v[25:26], s[2:3], v28, s14, v[5:6]
	v_add_u32_e32 v33, 0xffffff88, v21
	v_mad_u64_u32 v[21:22], s[2:3], v31, s6, 0
	v_mad_u64_u32 v[23:24], s[2:3], v34, s6, 0
	v_add_u32_e32 v5, v17, v27
	v_cmp_lt_u32_e64 s[2:3], 31, v5
	v_cndmask_b32_e64 v17, 0, v10, s[2:3]
	v_add_u32_e32 v27, v17, v5
	v_mov_b32_e32 v5, v26
	v_cndmask_b32_e32 v30, v25, v18, vcc
	v_mad_u64_u32 v[17:18], s[8:9], v28, s15, v[5:6]
	v_cmp_lt_u32_e64 s[6:7], 31, v27
	v_cndmask_b32_e64 v29, 0, v10, s[6:7]
	v_mov_b32_e32 v5, v18
	v_add_u32_e32 v35, v29, v27
	v_mad_u64_u32 v[26:27], s[8:9], v28, s16, v[5:6]
	v_cndmask_b32_e32 v29, v17, v19, vcc
	v_cndmask_b32_e64 v20, v30, v20, s[2:3]
	v_mov_b32_e32 v5, v27
	v_mad_u64_u32 v[18:19], s[8:9], v28, s17, v[5:6]
	v_mov_b32_e32 v5, v22
	v_mad_u64_u32 v[27:28], s[8:9], v31, s12, v[5:6]
	v_cndmask_b32_e64 v30, v29, v30, s[2:3]
	v_cndmask_b32_e64 v37, v30, v20, s[6:7]
	v_cndmask_b32_e32 v20, v26, v25, vcc
	v_mov_b32_e32 v5, v28
	v_cndmask_b32_e64 v22, v20, v29, s[2:3]
	v_mad_u64_u32 v[28:29], s[8:9], v31, s13, v[5:6]
	v_sub_u32_e32 v36, 32, v35
	v_cndmask_b32_e64 v25, v22, v30, s[6:7]
	v_alignbit_b32 v5, v25, v37, v36
	v_cmp_eq_u32_e64 s[8:9], 0, v35
	v_cndmask_b32_e64 v35, v5, v25, s[8:9]
	v_mov_b32_e32 v5, v29
	v_mad_u64_u32 v[29:30], s[10:11], v31, s14, v[5:6]
	v_cndmask_b32_e32 v17, v18, v17, vcc
	v_cndmask_b32_e32 v26, v19, v26, vcc
	v_mov_b32_e32 v5, v30
	v_mad_u64_u32 v[18:19], s[10:11], v31, s15, v[5:6]
	v_cndmask_b32_e64 v20, v17, v20, s[2:3]
	v_cndmask_b32_e64 v5, v26, v17, s[2:3]
	v_cndmask_b32_e64 v17, v5, v20, s[6:7]
	v_mov_b32_e32 v5, v19
	v_cndmask_b32_e64 v22, v20, v22, s[6:7]
	v_mad_u64_u32 v[19:20], s[2:3], v31, s16, v[5:6]
	v_alignbit_b32 v5, v17, v22, v36
	v_cndmask_b32_e64 v17, v5, v17, s[8:9]
	v_mov_b32_e32 v5, v20
	v_alignbit_b32 v38, v22, v25, v36
	v_mad_u64_u32 v[25:26], s[2:3], v31, s17, v[5:6]
	v_mov_b32_e32 v5, v24
	v_mad_u64_u32 v[30:31], s[2:3], v34, s12, v[5:6]
	v_cmp_lt_u32_e32 vcc, 63, v33
	v_cndmask_b32_e64 v36, v38, v22, s[8:9]
	v_mov_b32_e32 v5, v31
	v_cndmask_b32_e32 v38, v28, v21, vcc
	v_mad_u64_u32 v[20:21], s[2:3], v34, s13, v[5:6]
	v_lshrrev_b32_e32 v32, 23, v14
	v_add_u32_e32 v31, 0xffffff88, v32
	v_mov_b32_e32 v5, v21
	v_mad_u64_u32 v[21:22], s[2:3], v34, s14, v[5:6]
	v_alignbit_b32 v32, v35, v37, 30
	v_cndmask_b32_e32 v37, v25, v18, vcc
	v_mov_b32_e32 v5, v22
	v_mad_u64_u32 v[24:25], s[2:3], v34, s15, v[5:6]
	v_cndmask_b32_e32 v27, v29, v27, vcc
	v_cndmask_b32_e32 v29, v19, v29, vcc
	v_mov_b32_e32 v5, v25
	v_cndmask_b32_e32 v19, v26, v19, vcc
	v_mad_u64_u32 v[25:26], s[2:3], v34, s16, v[5:6]
	v_cmp_lt_u32_e64 s[2:3], 63, v31
	v_cndmask_b32_e64 v39, v20, v23, s[2:3]
	v_mov_b32_e32 v5, v26
	v_mad_u64_u32 v[22:23], s[6:7], v34, s17, v[5:6]
	v_cndmask_b32_e32 v28, v18, v28, vcc
	v_bfe_u32 v18, v17, 29, 1
	v_alignbit_b32 v35, v36, v35, 30
	v_alignbit_b32 v36, v17, v36, 30
	v_cndmask_b32_e64 v20, v24, v20, s[2:3]
	v_cndmask_b32_e64 v22, v22, v24, s[2:3]
	v_sub_u32_e32 v24, 0, v18
	v_cndmask_b32_e64 v5, v21, v30, s[2:3]
	v_cndmask_b32_e64 v21, v25, v21, s[2:3]
	;; [unrolled: 1-line block ×3, first 2 shown]
	v_xor_b32_e32 v25, v36, v24
	v_ffbh_u32_e32 v30, v25
	v_min_u32_e32 v30, 32, v30
	v_xor_b32_e32 v26, v35, v24
	v_xor_b32_e32 v24, v32, v24
	v_sub_u32_e32 v32, 31, v30
	v_alignbit_b32 v25, v25, v26, v32
	v_alignbit_b32 v24, v26, v24, v32
	;; [unrolled: 1-line block ×3, first 2 shown]
	v_ffbh_u32_e32 v32, v26
	v_min_u32_e32 v32, 32, v32
	v_not_b32_e32 v34, v32
	v_alignbit_b32 v24, v26, v24, v34
	v_cndmask_b32_e32 v26, 0, v16, vcc
	v_add_u32_e32 v26, v26, v33
	v_cmp_lt_u32_e32 vcc, 31, v26
	v_cndmask_b32_e32 v33, 0, v10, vcc
	v_add_u32_e32 v26, v33, v26
	v_cmp_lt_u32_e64 s[6:7], 31, v26
	v_cndmask_b32_e64 v33, 0, v10, s[6:7]
	v_add_u32_e32 v26, v33, v26
	v_cndmask_b32_e32 v19, v19, v37, vcc
	v_cndmask_b32_e32 v33, v37, v29, vcc
	v_cndmask_b32_e32 v29, v29, v28, vcc
	v_sub_u32_e32 v34, 32, v26
	v_cmp_eq_u32_e64 s[8:9], 0, v26
	v_cndmask_b32_e32 v26, v28, v27, vcc
	v_cndmask_b32_e32 v27, v27, v38, vcc
	v_cndmask_b32_e64 v19, v19, v33, s[6:7]
	v_cndmask_b32_e64 v33, v33, v29, s[6:7]
	;; [unrolled: 1-line block ×4, first 2 shown]
	v_alignbit_b32 v35, v19, v33, v34
	v_alignbit_b32 v29, v33, v28, v34
	;; [unrolled: 1-line block ×3, first 2 shown]
	v_cndmask_b32_e64 v19, v35, v19, s[8:9]
	v_cndmask_b32_e64 v29, v29, v33, s[8:9]
	v_cndmask_b32_e64 v27, v27, v28, s[8:9]
	v_alignbit_b32 v26, v27, v26, 30
	v_alignbit_b32 v27, v29, v27, 30
	;; [unrolled: 1-line block ×3, first 2 shown]
	v_bfe_u32 v29, v19, 29, 1
	v_sub_u32_e32 v33, 0, v29
	v_xor_b32_e32 v28, v28, v33
	v_xor_b32_e32 v27, v27, v33
	v_xor_b32_e32 v26, v26, v33
	v_ffbh_u32_e32 v33, v28
	v_min_u32_e32 v33, 32, v33
	v_sub_u32_e32 v34, 31, v33
	v_alignbit_b32 v28, v28, v27, v34
	v_alignbit_b32 v26, v27, v26, v34
	;; [unrolled: 1-line block ×3, first 2 shown]
	v_ffbh_u32_e32 v34, v27
	v_cndmask_b32_e64 v16, 0, v16, s[2:3]
	v_min_u32_e32 v34, 32, v34
	v_add_u32_e32 v16, v16, v31
	v_not_b32_e32 v35, v34
	v_cmp_lt_u32_e32 vcc, 31, v16
	v_alignbit_b32 v26, v27, v26, v35
	v_cndmask_b32_e32 v27, 0, v10, vcc
	v_add_u32_e32 v16, v27, v16
	v_cmp_lt_u32_e64 s[2:3], 31, v16
	v_cndmask_b32_e64 v10, 0, v10, s[2:3]
	v_add_u32_e32 v10, v10, v16
	v_cndmask_b32_e32 v16, v23, v22, vcc
	v_cndmask_b32_e32 v22, v22, v21, vcc
	;; [unrolled: 1-line block ×3, first 2 shown]
	v_cndmask_b32_e64 v16, v16, v22, s[2:3]
	v_cndmask_b32_e64 v22, v22, v21, s[2:3]
	v_sub_u32_e32 v23, 32, v10
	v_alignbit_b32 v27, v16, v22, v23
	v_cmp_eq_u32_e64 s[6:7], 0, v10
	v_cndmask_b32_e64 v10, v27, v16, s[6:7]
	v_cndmask_b32_e32 v16, v20, v5, vcc
	v_cndmask_b32_e32 v5, v5, v39, vcc
	v_cndmask_b32_e64 v20, v21, v16, s[2:3]
	v_cndmask_b32_e64 v5, v16, v5, s[2:3]
	v_alignbit_b32 v21, v22, v20, v23
	v_alignbit_b32 v16, v20, v5, v23
	v_cndmask_b32_e64 v21, v21, v22, s[6:7]
	v_cndmask_b32_e64 v16, v16, v20, s[6:7]
	v_alignbit_b32 v5, v16, v5, 30
	v_alignbit_b32 v16, v21, v16, 30
	;; [unrolled: 1-line block ×3, first 2 shown]
	v_bfe_u32 v21, v10, 29, 1
	v_sub_u32_e32 v22, 0, v21
	v_xor_b32_e32 v20, v20, v22
	v_xor_b32_e32 v16, v16, v22
	;; [unrolled: 1-line block ×3, first 2 shown]
	v_ffbh_u32_e32 v22, v20
	v_min_u32_e32 v22, 32, v22
	v_sub_u32_e32 v23, 31, v22
	v_alignbit_b32 v20, v20, v16, v23
	v_alignbit_b32 v5, v16, v5, v23
	;; [unrolled: 1-line block ×3, first 2 shown]
	v_ffbh_u32_e32 v23, v16
	v_min_u32_e32 v23, 32, v23
	v_not_b32_e32 v27, v23
	v_alignbit_b32 v5, v16, v5, v27
	v_lshrrev_b32_e32 v16, 29, v17
	v_lshlrev_b32_e32 v16, 31, v16
	v_add_lshl_u32 v27, v32, v30, 23
	v_or_b32_e32 v31, 0x33000000, v16
	v_sub_u32_e32 v27, v31, v27
	v_lshrrev_b32_e32 v24, 9, v24
	v_or_b32_e32 v24, v27, v24
	v_or_b32_e32 v16, 0.5, v16
	v_lshlrev_b32_e32 v27, 23, v30
	v_sub_u32_e32 v16, v16, v27
	v_lshrrev_b32_e32 v25, 9, v25
	v_or_b32_e32 v16, v25, v16
	s_mov_b32 s2, 0x3fc90fda
	v_mul_f32_e32 v25, 0x3fc90fda, v16
	v_fma_f32 v27, v16, s2, -v25
	v_lshrrev_b32_e32 v17, 30, v17
	v_fmac_f32_e32 v27, 0x33a22168, v16
	v_add_u32_e32 v17, v18, v17
	v_lshrrev_b32_e32 v18, 29, v19
	v_fmac_f32_e32 v27, 0x3fc90fda, v24
	v_lshlrev_b32_e32 v18, 31, v18
	v_add_f32_e32 v16, v25, v27
	v_add_lshl_u32 v24, v34, v33, 23
	v_or_b32_e32 v25, 0x33000000, v18
	v_sub_u32_e32 v24, v25, v24
	v_lshrrev_b32_e32 v25, 9, v26
	v_or_b32_e32 v24, v24, v25
	v_or_b32_e32 v18, 0.5, v18
	v_lshlrev_b32_e32 v25, 23, v33
	v_sub_u32_e32 v18, v18, v25
	v_lshrrev_b32_e32 v25, 9, v28
	v_or_b32_e32 v18, v25, v18
	v_mul_f32_e32 v25, 0x3fc90fda, v18
	v_fma_f32 v26, v18, s2, -v25
	v_fmac_f32_e32 v26, 0x33a22168, v18
	v_fmac_f32_e32 v26, 0x3fc90fda, v24
	v_lshrrev_b32_e32 v24, 29, v10
	v_lshlrev_b32_e32 v24, 31, v24
	v_add_f32_e32 v18, v25, v26
	v_add_lshl_u32 v23, v23, v22, 23
	v_or_b32_e32 v25, 0x33000000, v24
	v_sub_u32_e32 v23, v25, v23
	v_lshrrev_b32_e32 v5, 9, v5
	v_or_b32_e32 v5, v23, v5
	v_or_b32_e32 v23, 0.5, v24
	v_lshlrev_b32_e32 v22, 23, v22
	v_sub_u32_e32 v22, v23, v22
	v_lshrrev_b32_e32 v20, 9, v20
	v_or_b32_e32 v20, v20, v22
	v_mul_f32_e32 v22, 0x3fc90fda, v20
	v_fma_f32 v23, v20, s2, -v22
	s_mov_b32 s3, 0x3f22f983
	v_fmac_f32_e32 v23, 0x33a22168, v20
	v_mul_f32_e64 v20, |v12|, s3
	v_fmac_f32_e32 v23, 0x3fc90fda, v5
	v_lshrrev_b32_e32 v10, 30, v10
	v_rndne_f32_e32 v20, v20
	s_mov_b32 s6, 0xbfc90fda
	v_add_f32_e32 v5, v22, v23
	v_add_u32_e32 v10, v21, v10
	v_fma_f32 v21, v20, s6, |v12|
	v_cvt_i32_f32_e32 v22, v20
	v_fmac_f32_e32 v21, 0xb3a22168, v20
	s_brev_b32 s2, 18
	v_fmac_f32_e32 v21, 0xa7c234c4, v20
	v_mul_f32_e64 v20, |v13|, s3
	v_cmp_lt_f32_e64 vcc, |v12|, s2
	v_rndne_f32_e32 v20, v20
	v_cndmask_b32_e32 v16, v16, v21, vcc
	v_cndmask_b32_e32 v17, v17, v22, vcc
	v_fma_f32 v21, v20, s6, |v13|
	v_cvt_i32_f32_e32 v22, v20
	v_fmac_f32_e32 v21, 0xb3a22168, v20
	v_lshrrev_b32_e32 v19, 30, v19
	v_fmac_f32_e32 v21, 0xa7c234c4, v20
	v_mul_f32_e64 v20, |v11|, s3
	v_add_u32_e32 v19, v29, v19
	v_cmp_lt_f32_e64 vcc, |v13|, s2
	v_rndne_f32_e32 v20, v20
	v_cndmask_b32_e32 v19, v19, v22, vcc
	v_cvt_i32_f32_e32 v22, v20
	v_cndmask_b32_e32 v18, v18, v21, vcc
	v_fma_f32 v21, v20, s6, |v11|
	v_fmac_f32_e32 v21, 0xb3a22168, v20
	v_fmac_f32_e32 v21, 0xa7c234c4, v20
	v_cmp_lt_f32_e64 vcc, |v11|, s2
	v_cndmask_b32_e32 v20, v5, v21, vcc
	v_cndmask_b32_e32 v21, v10, v22, vcc
	v_mul_f32_e32 v5, v16, v16
	v_mov_b32_e32 v10, 0x3c0881c4
	v_fmac_f32_e32 v10, 0xb94c1982, v5
	v_mov_b32_e32 v22, 0xbe2aaa9d
	v_fma_f32 v10, v5, v10, v22
	v_mul_f32_e32 v10, v5, v10
	v_fmac_f32_e32 v16, v16, v10
	v_mov_b32_e32 v10, 0xbab64f3b
	v_fmac_f32_e32 v10, 0x37d75334, v5
	v_mov_b32_e32 v23, 0x3d2aabf7
	v_fma_f32 v10, v5, v10, v23
	v_mov_b32_e32 v24, 0xbf000004
	v_fma_f32 v10, v5, v10, v24
	v_fma_f32 v5, v5, v10, 1.0
	v_and_b32_e32 v10, 1, v17
	v_cmp_eq_u32_e32 vcc, 0, v10
	v_cndmask_b32_e32 v10, v5, v16, vcc
	v_xor_b32_e32 v10, v12, v10
	v_xor_b32_e32 v9, v10, v9
	v_lshlrev_b32_e32 v10, 30, v17
	v_and_b32_e32 v10, 0x80000000, v10
	v_cndmask_b32_e64 v5, -v16, v5, vcc
	v_xor_b32_e32 v17, v9, v10
	v_xor_b32_e32 v16, v10, v5
	global_load_dword v5, v[2:3], off
	global_load_dword v9, v[0:1], off
	;; [unrolled: 1-line block ×3, first 2 shown]
	v_mul_f32_e32 v0, v18, v18
	v_mov_b32_e32 v1, 0x3c0881c4
	v_fmac_f32_e32 v1, 0xb94c1982, v0
	v_fma_f32 v1, v0, v1, v22
	v_mul_f32_e32 v1, v0, v1
	v_fmac_f32_e32 v18, v18, v1
	v_mov_b32_e32 v1, 0xbab64f3b
	v_fmac_f32_e32 v1, 0x37d75334, v0
	v_fma_f32 v1, v0, v1, v23
	v_fma_f32 v1, v0, v1, v24
	v_fma_f32 v0, v0, v1, 1.0
	v_and_b32_e32 v1, 1, v19
	v_cmp_eq_u32_e32 vcc, 0, v1
	v_cndmask_b32_e32 v1, v0, v18, vcc
	v_xor_b32_e32 v1, v13, v1
	v_lshlrev_b32_e32 v2, 30, v19
	v_xor_b32_e32 v1, v1, v15
	v_and_b32_e32 v2, 0x80000000, v2
	v_cndmask_b32_e64 v0, -v18, v0, vcc
	v_xor_b32_e32 v1, v1, v2
	v_xor_b32_e32 v0, v2, v0
	v_mov_b32_e32 v2, 0x3c0881c4
	v_mul_f32_e32 v3, v20, v20
	v_fmac_f32_e32 v2, 0xb94c1982, v3
	v_fmac_f32_e32 v22, v3, v2
	v_mul_f32_e32 v2, v3, v22
	v_fmac_f32_e32 v20, v20, v2
	v_mov_b32_e32 v2, 0xbab64f3b
	s_movk_i32 s2, 0x1f8
	v_fmac_f32_e32 v2, 0x37d75334, v3
	v_mov_b32_e32 v25, 0x7fc00000
	v_cmp_class_f32_e64 vcc, v12, s2
	v_fmac_f32_e32 v23, v3, v2
	v_cndmask_b32_e32 v17, v25, v17, vcc
	v_cndmask_b32_e32 v18, v25, v16, vcc
	v_cmp_class_f32_e64 vcc, v13, s2
	v_fmac_f32_e32 v24, v3, v23
	v_and_b32_e32 v2, 1, v21
	v_cndmask_b32_e32 v7, v25, v1, vcc
	v_cndmask_b32_e32 v0, v25, v0, vcc
	v_fma_f32 v1, v3, v24, 1.0
	v_cmp_eq_u32_e32 vcc, 0, v2
	v_cndmask_b32_e32 v2, v1, v20, vcc
	v_lshlrev_b32_e32 v3, 30, v21
	v_xor_b32_e32 v2, v11, v2
	v_and_b32_e32 v3, 0x80000000, v3
	v_xor_b32_e32 v2, v2, v14
	v_xor_b32_e32 v2, v2, v3
	v_cmp_class_f32_e64 s[2:3], v11, s2
	v_cndmask_b32_e64 v1, -v20, v1, vcc
	v_cndmask_b32_e64 v2, v25, v2, s[2:3]
	v_xor_b32_e32 v1, v3, v1
	v_cndmask_b32_e64 v1, v25, v1, s[2:3]
	v_mul_f32_e32 v3, v17, v7
	v_mul_f32_e32 v11, v18, v2
	;; [unrolled: 1-line block ×4, first 2 shown]
	v_fma_f32 v11, v3, v1, -v11
	v_mul_f32_e32 v12, v15, v1
	v_mul_f32_e32 v14, v18, v1
	;; [unrolled: 1-line block ×3, first 2 shown]
	v_fmac_f32_e32 v12, v17, v2
	v_mul_f32_e32 v13, v0, v2
	v_fmac_f32_e32 v14, v3, v2
	v_fma_f32 v15, v15, v2, -v1
	v_mul_f32_e32 v16, v17, v0
	v_mul_f32_e32 v17, v18, v0
	v_mov_b32_e32 v18, 0x260
	v_mov_b32_e32 v20, 0x40b00000
	;; [unrolled: 1-line block ×6, first 2 shown]
.LBB0_1:                                ; =>This Loop Header: Depth=1
                                        ;     Child Loop BB0_2 Depth 2
	s_lshl_b64 s[2:3], s[22:23], 4
	s_add_u32 s2, s38, s2
	s_addc_u32 s3, s39, s3
	global_load_dwordx4 v[26:29], v6, s[2:3]
	v_mov_b32_e32 v2, s27
	s_mov_b32 s40, s33
	s_mov_b64 s[30:31], s[28:29]
	s_waitcnt vmcnt(0)
	v_ashrrev_i32_e32 v1, 31, v29
	v_mov_b32_e32 v0, v29
	v_lshlrev_b64 v[0:1], 4, v[0:1]
	v_fma_f32 v24, v8, v26, v5
	v_add_co_u32_e32 v0, vcc, s26, v0
	v_addc_co_u32_e32 v1, vcc, v2, v1, vcc
	global_load_dwordx4 v[0:3], v[0:1], off
	v_fma_f32 v25, v13, v26, v9
	v_fma_f32 v26, -v7, v26, v10
	v_fmac_f32_e32 v24, v11, v27
	v_fmac_f32_e32 v25, v14, v27
	;; [unrolled: 1-line block ×6, first 2 shown]
	s_waitcnt vmcnt(0)
	v_cmp_gt_f32_e64 s[8:9], 0, v2
	v_cmp_lt_f32_e64 s[2:3], 0, v2
	v_cmp_eq_u32_e64 s[4:5], s35, v0
	v_cmp_eq_u32_e64 s[6:7], s36, v0
	v_cndmask_b32_e64 v0, 1.0, v20, s[8:9]
	v_cndmask_b32_e64 v27, v21, 1.0, s[8:9]
.LBB0_2:                                ;   Parent Loop BB0_1 Depth=1
                                        ; =>  This Inner Loop Header: Depth=2
	global_load_dwordx4 v[28:31], v6, s[30:31] offset:-8
	v_mov_b32_e32 v33, s27
	s_waitcnt vmcnt(0)
	v_ashrrev_i32_e32 v32, 31, v31
	v_lshlrev_b64 v[31:32], 4, v[31:32]
	v_sub_f32_e32 v29, v25, v29
	v_add_co_u32_e32 v31, vcc, s26, v31
	v_addc_co_u32_e32 v32, vcc, v33, v32, vcc
	global_load_dwordx4 v[31:34], v[31:32], off
	v_sub_f32_e32 v28, v24, v28
	v_mul_f32_e32 v29, v29, v29
	v_sub_f32_e32 v30, v26, v30
	v_fmac_f32_e32 v29, v28, v28
	v_fmac_f32_e32 v29, v30, v30
	v_mul_f32_e32 v28, 0x4f800000, v29
	v_cmp_gt_f32_e32 vcc, s37, v29
	v_cndmask_b32_e32 v28, v29, v28, vcc
	v_sqrt_f32_e32 v29, v28
	v_add_u32_e32 v30, -1, v29
	v_add_u32_e32 v35, 1, v29
	v_fma_f32 v36, -v30, v29, v28
	v_fma_f32 v37, -v35, v29, v28
	v_cmp_ge_f32_e64 s[10:11], 0, v36
	v_cndmask_b32_e64 v29, v29, v30, s[10:11]
	v_cmp_lt_f32_e64 s[10:11], 0, v37
	v_cndmask_b32_e64 v29, v29, v35, s[10:11]
	v_mul_f32_e32 v30, 0x37800000, v29
	v_cndmask_b32_e32 v29, v29, v30, vcc
	v_cmp_class_f32_e32 vcc, v28, v18
	v_cndmask_b32_e32 v28, v29, v28, vcc
	s_waitcnt vmcnt(0)
	v_add_f32_e32 v29, v1, v32
	v_cmp_gt_f32_e64 s[16:17], 0, v33
	v_cmp_eq_u32_e32 vcc, s35, v31
	v_cmp_eq_u32_e64 s[10:11], s36, v31
	v_cndmask_b32_e64 v31, v27, v0, s[16:17]
	v_div_scale_f32 v32, s[18:19], v29, v29, 1.0
	v_div_scale_f32 v36, s[20:21], v31, v31, 1.0
	v_mul_f32_e32 v30, v3, v34
	v_div_scale_f32 v34, s[18:19], 1.0, v29, 1.0
	v_div_scale_f32 v38, s[20:21], 1.0, v31, 1.0
	v_cmp_lt_f32_e64 s[12:13], 0, v33
	s_and_b64 s[16:17], s[16:17], s[2:3]
	s_and_b64 s[12:13], s[12:13], s[8:9]
	v_cmp_neq_f32_e64 s[14:15], 0, v33
	v_sub_f32_e32 v35, v28, v29
	s_and_b64 vcc, vcc, s[4:5]
	v_cndmask_b32_e64 v33, v33, -v33, s[16:17]
	v_rcp_f32_e32 v41, v32
	v_cndmask_b32_e64 v39, v2, -v2, s[12:13]
	v_rcp_f32_e32 v42, v36
	v_cndmask_b32_e64 v37, 2.0, 4.0, vcc
	v_fma_f32 v43, -v32, v41, 1.0
	v_fmac_f32_e32 v41, v43, v41
	v_fma_f32 v44, -v36, v42, 1.0
	v_fmac_f32_e32 v42, v44, v42
	v_mul_f32_e32 v43, v34, v41
	v_mul_f32_e32 v44, v38, v42
	v_fma_f32 v45, -v32, v43, v34
	v_add_f32_e32 v33, v33, v39
	v_cndmask_b32_e32 v39, 0.5, v22, vcc
	v_cmp_lt_f32_e32 vcc, v35, v31
	v_fma_f32 v46, -v36, v44, v38
	v_fmac_f32_e32 v43, v45, v41
	s_and_b64 s[14:15], s[14:15], vcc
	v_fmac_f32_e32 v44, v46, v42
	v_fma_f32 v32, -v32, v43, v34
	s_mov_b64 vcc, s[18:19]
	v_fma_f32 v34, -v36, v44, v38
	v_div_fmas_f32 v32, v32, v41, v43
	s_mov_b64 vcc, s[20:21]
	v_div_fmas_f32 v34, v34, v42, v44
	v_cmp_gt_f32_e64 s[12:13], 0, v35
	v_cmp_lt_f32_e64 s[16:17], v35, v37
	v_fma_f32 v39, -v35, v39, 1.0
	v_cndmask_b32_e64 v37, 0, 1.0, s[16:17]
	v_cndmask_b32_e64 v36, 0, 1.0, s[14:15]
	v_cndmask_b32_e64 v38, v39, 1.0, s[12:13]
	v_mul_f32_e32 v33, v33, v36
	v_mul_f32_e32 v36, v37, v38
	v_cndmask_b32_e64 v40, 0, v23, s[12:13]
	v_mul_f32_e32 v30, v30, v36
	s_or_b64 s[10:11], s[10:11], s[6:7]
	s_add_u32 s30, s30, 16
	v_cndmask_b32_e64 v30, v30, -|v30|, s[10:11]
	v_div_fixup_f32 v29, v32, v29, 1.0
	v_fma_f32 v28, -v28, v29, 1.0
	v_div_fixup_f32 v31, v34, v31, 1.0
	v_fma_f32 v29, -v35, v31, 1.0
	v_fmac_f32_e32 v19, v28, v40
	s_addc_u32 s31, s31, 0
	s_add_i32 s40, s40, -1
	v_cndmask_b32_e64 v28, v29, 1.0, s[12:13]
	v_fmac_f32_e32 v19, 0x42340000, v30
	s_cmp_lg_u32 s40, 0
	v_fmac_f32_e32 v19, v33, v28
	s_cbranch_scc1 .LBB0_2
; %bb.3:                                ;   in Loop: Header=BB0_1 Depth=1
	s_add_i32 s22, s22, 1
	s_cmp_lg_u32 s22, s34
	s_cbranch_scc1 .LBB0_1
; %bb.4:
	s_and_saveexec_b64 s[2:3], s[0:1]
	s_cbranch_execz .LBB0_6
; %bb.5:
	v_mov_b32_e32 v5, 0
	v_lshlrev_b64 v[0:1], 2, v[4:5]
	v_mov_b32_e32 v3, s25
	v_add_co_u32_e32 v0, vcc, s24, v0
	v_mul_f32_e32 v2, 0.5, v19
	v_addc_co_u32_e32 v1, vcc, v3, v1, vcc
	global_store_dword v[0:1], v2, off
.LBB0_6:
	s_endpgm
	.section	.rodata,"a",@progbits
	.p2align	6, 0x0
	.amdhsa_kernel _ZL11fasten_mainILm1EEviiPK4AtomS2_PKfS4_S4_S4_S4_S4_PfPK8FFParamsi
		.amdhsa_group_segment_fixed_size 0
		.amdhsa_private_segment_fixed_size 0
		.amdhsa_kernarg_size 352
		.amdhsa_user_sgpr_count 6
		.amdhsa_user_sgpr_private_segment_buffer 1
		.amdhsa_user_sgpr_dispatch_ptr 0
		.amdhsa_user_sgpr_queue_ptr 0
		.amdhsa_user_sgpr_kernarg_segment_ptr 1
		.amdhsa_user_sgpr_dispatch_id 0
		.amdhsa_user_sgpr_flat_scratch_init 0
		.amdhsa_user_sgpr_private_segment_size 0
		.amdhsa_uses_dynamic_stack 0
		.amdhsa_system_sgpr_private_segment_wavefront_offset 0
		.amdhsa_system_sgpr_workgroup_id_x 1
		.amdhsa_system_sgpr_workgroup_id_y 0
		.amdhsa_system_sgpr_workgroup_id_z 0
		.amdhsa_system_sgpr_workgroup_info 0
		.amdhsa_system_vgpr_workitem_id 0
		.amdhsa_next_free_vgpr 47
		.amdhsa_next_free_sgpr 52
		.amdhsa_reserve_vcc 1
		.amdhsa_reserve_flat_scratch 0
		.amdhsa_float_round_mode_32 0
		.amdhsa_float_round_mode_16_64 0
		.amdhsa_float_denorm_mode_32 3
		.amdhsa_float_denorm_mode_16_64 3
		.amdhsa_dx10_clamp 1
		.amdhsa_ieee_mode 1
		.amdhsa_fp16_overflow 0
		.amdhsa_exception_fp_ieee_invalid_op 0
		.amdhsa_exception_fp_denorm_src 0
		.amdhsa_exception_fp_ieee_div_zero 0
		.amdhsa_exception_fp_ieee_overflow 0
		.amdhsa_exception_fp_ieee_underflow 0
		.amdhsa_exception_fp_ieee_inexact 0
		.amdhsa_exception_int_div_zero 0
	.end_amdhsa_kernel
	.section	.text._ZL11fasten_mainILm1EEviiPK4AtomS2_PKfS4_S4_S4_S4_S4_PfPK8FFParamsi,"axG",@progbits,_ZL11fasten_mainILm1EEviiPK4AtomS2_PKfS4_S4_S4_S4_S4_PfPK8FFParamsi,comdat
.Lfunc_end0:
	.size	_ZL11fasten_mainILm1EEviiPK4AtomS2_PKfS4_S4_S4_S4_S4_PfPK8FFParamsi, .Lfunc_end0-_ZL11fasten_mainILm1EEviiPK4AtomS2_PKfS4_S4_S4_S4_S4_PfPK8FFParamsi
                                        ; -- End function
	.set _ZL11fasten_mainILm1EEviiPK4AtomS2_PKfS4_S4_S4_S4_S4_PfPK8FFParamsi.num_vgpr, 47
	.set _ZL11fasten_mainILm1EEviiPK4AtomS2_PKfS4_S4_S4_S4_S4_PfPK8FFParamsi.num_agpr, 0
	.set _ZL11fasten_mainILm1EEviiPK4AtomS2_PKfS4_S4_S4_S4_S4_PfPK8FFParamsi.numbered_sgpr, 52
	.set _ZL11fasten_mainILm1EEviiPK4AtomS2_PKfS4_S4_S4_S4_S4_PfPK8FFParamsi.num_named_barrier, 0
	.set _ZL11fasten_mainILm1EEviiPK4AtomS2_PKfS4_S4_S4_S4_S4_PfPK8FFParamsi.private_seg_size, 0
	.set _ZL11fasten_mainILm1EEviiPK4AtomS2_PKfS4_S4_S4_S4_S4_PfPK8FFParamsi.uses_vcc, 1
	.set _ZL11fasten_mainILm1EEviiPK4AtomS2_PKfS4_S4_S4_S4_S4_PfPK8FFParamsi.uses_flat_scratch, 0
	.set _ZL11fasten_mainILm1EEviiPK4AtomS2_PKfS4_S4_S4_S4_S4_PfPK8FFParamsi.has_dyn_sized_stack, 0
	.set _ZL11fasten_mainILm1EEviiPK4AtomS2_PKfS4_S4_S4_S4_S4_PfPK8FFParamsi.has_recursion, 0
	.set _ZL11fasten_mainILm1EEviiPK4AtomS2_PKfS4_S4_S4_S4_S4_PfPK8FFParamsi.has_indirect_call, 0
	.section	.AMDGPU.csdata,"",@progbits
; Kernel info:
; codeLenInByte = 3452
; TotalNumSgprs: 56
; NumVgprs: 47
; ScratchSize: 0
; MemoryBound: 0
; FloatMode: 240
; IeeeMode: 1
; LDSByteSize: 0 bytes/workgroup (compile time only)
; SGPRBlocks: 6
; VGPRBlocks: 11
; NumSGPRsForWavesPerEU: 56
; NumVGPRsForWavesPerEU: 47
; Occupancy: 5
; WaveLimiterHint : 1
; COMPUTE_PGM_RSRC2:SCRATCH_EN: 0
; COMPUTE_PGM_RSRC2:USER_SGPR: 6
; COMPUTE_PGM_RSRC2:TRAP_HANDLER: 0
; COMPUTE_PGM_RSRC2:TGID_X_EN: 1
; COMPUTE_PGM_RSRC2:TGID_Y_EN: 0
; COMPUTE_PGM_RSRC2:TGID_Z_EN: 0
; COMPUTE_PGM_RSRC2:TIDIG_COMP_CNT: 0
	.section	.text._ZL11fasten_mainILm2EEviiPK4AtomS2_PKfS4_S4_S4_S4_S4_PfPK8FFParamsi,"axG",@progbits,_ZL11fasten_mainILm2EEviiPK4AtomS2_PKfS4_S4_S4_S4_S4_PfPK8FFParamsi,comdat
	.globl	_ZL11fasten_mainILm2EEviiPK4AtomS2_PKfS4_S4_S4_S4_S4_PfPK8FFParamsi ; -- Begin function _ZL11fasten_mainILm2EEviiPK4AtomS2_PKfS4_S4_S4_S4_S4_PfPK8FFParamsi
	.p2align	8
	.type	_ZL11fasten_mainILm2EEviiPK4AtomS2_PKfS4_S4_S4_S4_S4_PfPK8FFParamsi,@function
_ZL11fasten_mainILm2EEviiPK4AtomS2_PKfS4_S4_S4_S4_S4_PfPK8FFParamsi: ; @_ZL11fasten_mainILm2EEviiPK4AtomS2_PKfS4_S4_S4_S4_S4_PfPK8FFParamsi
; %bb.0:
	s_add_u32 s0, s0, s7
	s_load_dword s7, s[4:5], 0x6c
	s_load_dword s8, s[4:5], 0x58
	s_load_dwordx16 s[36:51], s[4:5], 0x8
	s_addc_u32 s1, s1, 0
	s_mov_b32 s20, 64
	s_waitcnt lgkmcnt(0)
	s_and_b32 s33, s7, 0xffff
	s_mul_i32 s6, s6, s33
	v_lshl_add_u32 v8, s6, 1, v0
	s_add_i32 s6, s8, -2
	v_mov_b32_e32 v0, s6
	v_cmp_gt_i32_e64 s[6:7], s8, v8
	v_cndmask_b32_e64 v4, v0, v8, s[6:7]
	v_ashrrev_i32_e32 v5, 31, v4
	s_mov_b32 s21, 0
	s_mov_b32 s52, 16
	;; [unrolled: 1-line block ×3, first 2 shown]
	s_mov_b64 s[14:15], -1
	v_mov_b32_e32 v6, s41
	s_brev_b32 s22, 18
	s_mov_b32 s23, 0xfe5163ab
	v_mov_b32_e32 v1, 0
	s_mov_b32 s24, 0x3c439041
	s_mov_b32 s25, 0xdb629599
	;; [unrolled: 1-line block ×9, first 2 shown]
	v_mov_b32_e32 v7, 0xbe2aaa9d
	v_mov_b32_e32 v9, 0x3d2aabf7
	;; [unrolled: 1-line block ×3, first 2 shown]
	s_movk_i32 s35, 0x1f8
	v_not_b32_e32 v11, 63
	v_not_b32_e32 v12, 31
	v_mov_b32_e32 v13, 0x7fc00000
	s_branch .LBB1_2
.LBB1_1:                                ;   in Loop: Header=BB1_2 Depth=1
	s_or_b64 exec, exec, s[8:9]
	v_mul_f32_e32 v31, v30, v30
	v_mov_b32_e32 v32, 0x3c0881c4
	v_fmac_f32_e32 v32, 0xb94c1982, v31
	v_fma_f32 v32, v31, v32, v7
	v_mul_f32_e32 v32, v31, v32
	v_fmac_f32_e32 v30, v30, v32
	v_mov_b32_e32 v32, 0xbab64f3b
	v_fmac_f32_e32 v32, 0x37d75334, v31
	v_fma_f32 v32, v31, v32, v9
	v_fma_f32 v32, v31, v32, v10
	v_fma_f32 v31, v31, v32, 1.0
	v_and_b32_e32 v32, 1, v29
	v_lshlrev_b32_e32 v29, 30, v29
	v_cmp_eq_u32_e32 vcc, 0, v32
	v_and_b32_e32 v29, 0x80000000, v29
	v_xor_b32_e32 v27, v27, v26
	v_cndmask_b32_e32 v30, v31, v30, vcc
	v_xor_b32_e32 v27, v27, v29
	v_xor_b32_e32 v27, v27, v30
	v_cmp_class_f32_e64 vcc, v26, s35
	v_cndmask_b32_e32 v26, v13, v27, vcc
	v_mul_f32_e32 v27, v25, v25
	v_mov_b32_e32 v29, 0x3c0881c4
	v_fmac_f32_e32 v29, 0xb94c1982, v27
	v_fma_f32 v29, v27, v29, v7
	v_mul_f32_e32 v29, v27, v29
	v_fmac_f32_e32 v25, v25, v29
	v_mov_b32_e32 v29, 0xbab64f3b
	v_fmac_f32_e32 v29, 0x37d75334, v27
	v_fma_f32 v29, v27, v29, v9
	v_fma_f32 v29, v27, v29, v10
	v_fma_f32 v27, v27, v29, 1.0
	v_and_b32_e32 v29, 1, v24
	v_cmp_eq_u32_e64 s[8:9], 0, v29
	v_lshlrev_b32_e32 v24, 30, v24
	v_cndmask_b32_e64 v25, -v25, v27, s[8:9]
	v_and_b32_e32 v24, 0x80000000, v24
	v_xor_b32_e32 v24, v24, v25
	v_mul_f32_e32 v25, v23, v23
	v_mov_b32_e32 v27, 0x3c0881c4
	v_fmac_f32_e32 v27, 0xb94c1982, v25
	v_fma_f32 v27, v25, v27, v7
	v_mul_f32_e32 v27, v25, v27
	v_fmac_f32_e32 v23, v23, v27
	v_mov_b32_e32 v27, 0xbab64f3b
	v_fmac_f32_e32 v27, 0x37d75334, v25
	v_fma_f32 v27, v25, v27, v9
	v_fma_f32 v27, v25, v27, v10
	v_fma_f32 v25, v25, v27, 1.0
	v_and_b32_e32 v27, 1, v22
	v_lshlrev_b32_e32 v22, 30, v22
	v_cmp_class_f32_e64 s[8:9], v20, s35
	v_cmp_eq_u32_e64 s[10:11], 0, v27
	v_and_b32_e32 v22, 0x80000000, v22
	v_xor_b32_e32 v20, v21, v20
	v_cndmask_b32_e64 v23, v25, v23, s[10:11]
	v_xor_b32_e32 v20, v20, v22
	v_xor_b32_e32 v20, v20, v23
	v_cndmask_b32_e64 v24, v13, v24, s[8:9]
	v_cndmask_b32_e64 v20, v13, v20, s[8:9]
	v_mov_b32_e32 v22, s47
	v_add_co_u32_e64 v21, s[8:9], s46, v2
	v_addc_co_u32_e64 v22, s[8:9], v22, v3, s[8:9]
	v_mul_f32_e32 v23, v19, v19
	global_load_dword v25, v[21:22], off
	v_mov_b32_e32 v21, 0x3c0881c4
	v_fmac_f32_e32 v21, 0xb94c1982, v23
	v_fma_f32 v27, v23, v21, v7
	v_mov_b32_e32 v22, s49
	v_add_co_u32_e64 v21, s[8:9], s48, v2
	v_addc_co_u32_e64 v22, s[8:9], v22, v3, s[8:9]
	global_load_dword v21, v[21:22], off
	v_mul_f32_e32 v22, v23, v27
	v_mov_b32_e32 v27, s51
	v_add_co_u32_e64 v2, s[8:9], s50, v2
	v_addc_co_u32_e64 v3, s[8:9], v27, v3, s[8:9]
	global_load_dword v2, v[2:3], off
	v_mov_b32_e32 v3, 0xbab64f3b
	v_fmac_f32_e32 v3, 0x37d75334, v23
	v_fma_f32 v3, v23, v3, v9
	v_fmac_f32_e32 v19, v19, v22
	v_fma_f32 v3, v23, v3, v10
	v_and_b32_e32 v22, 1, v18
	v_fma_f32 v3, v23, v3, 1.0
	v_cmp_eq_u32_e64 s[8:9], 0, v22
	v_lshlrev_b32_e32 v18, 30, v18
	v_cndmask_b32_e64 v3, -v19, v3, s[8:9]
	v_and_b32_e32 v18, 0x80000000, v18
	v_xor_b32_e32 v3, v18, v3
	v_mul_f32_e32 v18, v17, v17
	v_mov_b32_e32 v19, 0x3c0881c4
	v_fmac_f32_e32 v19, 0xb94c1982, v18
	v_fma_f32 v19, v18, v19, v7
	v_mul_f32_e32 v19, v18, v19
	v_fmac_f32_e32 v17, v17, v19
	v_mov_b32_e32 v19, 0xbab64f3b
	v_fmac_f32_e32 v19, 0x37d75334, v18
	v_fma_f32 v19, v18, v19, v9
	v_fma_f32 v19, v18, v19, v10
	v_fma_f32 v18, v18, v19, 1.0
	v_and_b32_e32 v19, 1, v16
	v_lshlrev_b32_e32 v16, 30, v16
	v_cmp_class_f32_e64 s[8:9], v14, s35
	v_and_b32_e32 v16, 0x80000000, v16
	v_xor_b32_e32 v14, v15, v14
	v_xor_b32_e32 v14, v14, v16
	v_mul_f32_e32 v15, v28, v28
	v_mov_b32_e32 v16, 0x3c0881c4
	v_fmac_f32_e32 v16, 0xb94c1982, v15
	v_fma_f32 v16, v15, v16, v7
	v_mul_f32_e32 v16, v15, v16
	v_fmac_f32_e32 v28, v28, v16
	v_mov_b32_e32 v16, 0xbab64f3b
	v_fmac_f32_e32 v16, 0x37d75334, v15
	v_cmp_eq_u32_e64 s[10:11], 0, v19
	v_fma_f32 v16, v15, v16, v9
	v_cndmask_b32_e64 v17, v18, v17, s[10:11]
	v_fma_f32 v16, v15, v16, v10
	v_xor_b32_e32 v14, v14, v17
	v_fma_f32 v15, v15, v16, 1.0
	v_and_b32_e32 v16, 1, v0
	v_cndmask_b32_e64 v3, v13, v3, s[8:9]
	v_cndmask_b32_e64 v14, v13, v14, s[8:9]
	v_cmp_eq_u32_e64 s[8:9], 0, v16
	v_lshlrev_b32_e32 v0, 30, v0
	v_cndmask_b32_e64 v15, -v28, v15, s[8:9]
	v_and_b32_e32 v0, 0x80000000, v0
	v_xor_b32_e32 v0, v0, v15
	v_cndmask_b32_e32 v0, v13, v0, vcc
	v_mul_f32_e32 v15, v24, v0
	v_mov_b32_e32 v16, s52
	buffer_store_dword v15, v16, s[0:3], 0 offen
	v_mul_f32_e32 v15, v14, v20
	v_mul_f32_e32 v17, v3, v26
	v_fma_f32 v17, v15, v0, -v17
	buffer_store_dword v17, v16, s[0:3], 0 offen offset:4
	v_mul_f32_e32 v17, v3, v20
	v_mul_f32_e32 v18, v17, v0
	v_fmac_f32_e32 v18, v14, v26
	buffer_store_dword v18, v16, s[0:3], 0 offen offset:8
	s_waitcnt vmcnt(5)
	buffer_store_dword v25, v16, s[0:3], 0 offen offset:12
	v_mul_f32_e32 v18, v24, v26
	buffer_store_dword v18, v16, s[0:3], 0 offen offset:16
	v_mul_f32_e32 v18, v3, v0
	v_mul_f32_e32 v0, v14, v0
	v_fmac_f32_e32 v18, v15, v26
	v_fma_f32 v0, v17, v26, -v0
	buffer_store_dword v18, v16, s[0:3], 0 offen offset:20
	buffer_store_dword v0, v16, s[0:3], 0 offen offset:24
	s_waitcnt vmcnt(8)
	buffer_store_dword v21, v16, s[0:3], 0 offen offset:28
	v_xor_b32_e32 v0, 0x80000000, v20
	buffer_store_dword v0, v16, s[0:3], 0 offen offset:32
	v_mul_f32_e32 v0, v14, v24
	s_xor_b64 s[12:13], s[14:15], -1
	buffer_store_dword v0, v16, s[0:3], 0 offen offset:36
	v_mul_f32_e32 v0, v3, v24
	s_mov_b32 s16, 1
	buffer_store_dword v0, v16, s[0:3], 0 offen offset:40
	s_waitcnt vmcnt(11)
	buffer_store_dword v2, v16, s[0:3], 0 offen offset:44
	v_mov_b32_e32 v0, s21
	s_mov_b32 s21, 4
	s_mov_b64 s[14:15], 0
	s_andn2_b64 vcc, exec, s[12:13]
	s_mov_b32 s52, s20
	buffer_store_dword v1, v0, s[0:3], 0 offen
	s_cbranch_vccz .LBB1_26
.LBB1_2:                                ; =>This Inner Loop Header: Depth=1
	s_mul_i32 s8, s16, s33
	v_add_co_u32_e32 v2, vcc, s8, v4
	v_addc_co_u32_e32 v3, vcc, 0, v5, vcc
	v_lshlrev_b64 v[2:3], 2, v[2:3]
                                        ; implicit-def: $vgpr17
	v_add_co_u32_e32 v14, vcc, s40, v2
	v_addc_co_u32_e32 v15, vcc, v6, v3, vcc
	global_load_dword v14, v[14:15], off
	s_waitcnt vmcnt(0)
	v_and_b32_e32 v15, 0x7fffffff, v14
	v_lshrrev_b32_e32 v0, 23, v15
	v_and_b32_e32 v16, 0x7fffff, v15
	v_cmp_nlt_f32_e64 s[16:17], |v14|, s22
	v_add_u32_e32 v21, 0xffffff88, v0
	v_or_b32_e32 v20, 0x800000, v16
                                        ; implicit-def: $vgpr16
	s_and_saveexec_b64 s[8:9], s[16:17]
	s_xor_b64 s[18:19], exec, s[8:9]
	s_cbranch_execz .LBB1_4
; %bb.3:                                ;   in Loop: Header=BB1_2 Depth=1
	v_mad_u64_u32 v[16:17], s[8:9], v20, s23, 0
	v_cmp_lt_u32_e32 vcc, 63, v21
	v_mov_b32_e32 v0, v17
	v_mad_u64_u32 v[17:18], s[8:9], v20, s24, v[0:1]
	v_mov_b32_e32 v0, v18
	v_mad_u64_u32 v[18:19], s[8:9], v20, s25, v[0:1]
	;; [unrolled: 2-line block ×3, first 2 shown]
	v_cndmask_b32_e32 v0, 0, v11, vcc
	v_add_u32_e32 v19, v0, v21
	v_mov_b32_e32 v0, v23
	v_mad_u64_u32 v[23:24], s[8:9], v20, s27, v[0:1]
	v_cmp_lt_u32_e64 s[8:9], 31, v19
	v_cndmask_b32_e64 v0, 0, v12, s[8:9]
	v_add_u32_e32 v19, v0, v19
	v_mov_b32_e32 v0, v24
	v_mad_u64_u32 v[24:25], s[10:11], v20, s28, v[0:1]
	v_cmp_lt_u32_e64 s[10:11], 31, v19
	v_cndmask_b32_e64 v0, 0, v12, s[10:11]
	v_add_u32_e32 v19, v0, v19
	v_mov_b32_e32 v0, v25
	v_mad_u64_u32 v[25:26], s[12:13], v20, s29, v[0:1]
	v_cndmask_b32_e32 v0, v23, v18, vcc
	v_cndmask_b32_e32 v27, v24, v22, vcc
	;; [unrolled: 1-line block ×4, first 2 shown]
	v_cndmask_b32_e64 v28, v27, v0, s[8:9]
	v_cndmask_b32_e64 v25, v23, v27, s[8:9]
	;; [unrolled: 1-line block ×3, first 2 shown]
	v_cndmask_b32_e32 v17, v22, v17, vcc
	v_cndmask_b32_e64 v23, v23, v25, s[10:11]
	v_cndmask_b32_e64 v24, v25, v28, s[10:11]
	v_sub_u32_e32 v25, 32, v19
	v_cndmask_b32_e64 v0, v0, v17, s[8:9]
	v_alignbit_b32 v26, v23, v24, v25
	v_cmp_eq_u32_e64 s[12:13], 0, v19
	v_cndmask_b32_e64 v22, v28, v0, s[10:11]
	v_cndmask_b32_e64 v19, v26, v23, s[12:13]
	v_alignbit_b32 v23, v24, v22, v25
	v_cndmask_b32_e32 v16, v18, v16, vcc
	v_cndmask_b32_e64 v23, v23, v24, s[12:13]
	v_bfe_u32 v27, v19, 29, 1
	v_cndmask_b32_e64 v16, v17, v16, s[8:9]
	v_alignbit_b32 v24, v19, v23, 30
	v_sub_u32_e32 v28, 0, v27
	v_cndmask_b32_e64 v0, v0, v16, s[10:11]
	v_xor_b32_e32 v24, v24, v28
	v_alignbit_b32 v16, v22, v0, v25
	v_cndmask_b32_e64 v16, v16, v22, s[12:13]
	v_ffbh_u32_e32 v18, v24
	v_alignbit_b32 v17, v23, v16, 30
	v_min_u32_e32 v18, 32, v18
	v_alignbit_b32 v0, v16, v0, 30
	v_xor_b32_e32 v17, v17, v28
	v_sub_u32_e32 v22, 31, v18
	v_xor_b32_e32 v0, v0, v28
	v_alignbit_b32 v23, v24, v17, v22
	v_alignbit_b32 v0, v17, v0, v22
	;; [unrolled: 1-line block ×3, first 2 shown]
	v_ffbh_u32_e32 v17, v16
	v_min_u32_e32 v17, 32, v17
	v_lshrrev_b32_e32 v26, 29, v19
	v_not_b32_e32 v22, v17
	v_alignbit_b32 v0, v16, v0, v22
	v_lshlrev_b32_e32 v16, 31, v26
	v_or_b32_e32 v22, 0x33000000, v16
	v_add_lshl_u32 v17, v17, v18, 23
	v_lshrrev_b32_e32 v0, 9, v0
	v_sub_u32_e32 v17, v22, v17
	v_or_b32_e32 v16, 0.5, v16
	v_lshlrev_b32_e32 v18, 23, v18
	v_or_b32_e32 v0, v17, v0
	v_lshrrev_b32_e32 v17, 9, v23
	v_sub_u32_e32 v16, v16, v18
	v_or_b32_e32 v16, v17, v16
	v_mul_f32_e32 v17, 0x3fc90fda, v16
	v_fma_f32 v18, v16, s30, -v17
	v_fmac_f32_e32 v18, 0x33a22168, v16
	v_fmac_f32_e32 v18, 0x3fc90fda, v0
	v_lshrrev_b32_e32 v0, 30, v19
	v_add_f32_e32 v17, v17, v18
	v_add_u32_e32 v16, v27, v0
.LBB1_4:                                ;   in Loop: Header=BB1_2 Depth=1
	s_or_saveexec_b64 s[8:9], s[18:19]
	v_mul_f32_e64 v0, |v14|, s31
	v_rndne_f32_e32 v0, v0
	s_xor_b64 exec, exec, s[8:9]
; %bb.5:                                ;   in Loop: Header=BB1_2 Depth=1
	v_cvt_i32_f32_e32 v16, v0
	v_fma_f32 v17, v0, s34, |v14|
	v_fmac_f32_e32 v17, 0xb3a22168, v0
	v_fmac_f32_e32 v17, 0xa7c234c4, v0
; %bb.6:                                ;   in Loop: Header=BB1_2 Depth=1
	s_or_b64 exec, exec, s[8:9]
                                        ; implicit-def: $vgpr18
                                        ; implicit-def: $vgpr19
	s_and_saveexec_b64 s[8:9], s[16:17]
	s_xor_b64 s[16:17], exec, s[8:9]
	s_cbranch_execz .LBB1_8
; %bb.7:                                ;   in Loop: Header=BB1_2 Depth=1
	v_mad_u64_u32 v[18:19], s[8:9], v20, s23, 0
	v_cmp_lt_u32_e32 vcc, 63, v21
	v_mov_b32_e32 v0, v19
	v_mad_u64_u32 v[22:23], s[8:9], v20, s24, v[0:1]
	v_mov_b32_e32 v0, v23
	v_mad_u64_u32 v[23:24], s[8:9], v20, s25, v[0:1]
	;; [unrolled: 2-line block ×3, first 2 shown]
	v_cndmask_b32_e32 v0, 0, v11, vcc
	v_add_u32_e32 v19, v0, v21
	v_mov_b32_e32 v0, v25
	v_mad_u64_u32 v[25:26], s[8:9], v20, s27, v[0:1]
	v_cmp_lt_u32_e64 s[8:9], 31, v19
	v_cndmask_b32_e64 v0, 0, v12, s[8:9]
	v_add_u32_e32 v19, v0, v19
	v_mov_b32_e32 v0, v26
	v_mad_u64_u32 v[26:27], s[10:11], v20, s28, v[0:1]
	v_cmp_lt_u32_e64 s[10:11], 31, v19
	v_cndmask_b32_e64 v0, 0, v12, s[10:11]
	v_add_u32_e32 v21, v0, v19
	v_mov_b32_e32 v0, v27
	v_mad_u64_u32 v[19:20], s[12:13], v20, s29, v[0:1]
	v_cndmask_b32_e32 v0, v25, v23, vcc
	v_cndmask_b32_e32 v27, v26, v24, vcc
	;; [unrolled: 1-line block ×4, first 2 shown]
	v_cndmask_b32_e64 v28, v27, v0, s[8:9]
	v_cndmask_b32_e64 v25, v19, v27, s[8:9]
	;; [unrolled: 1-line block ×5, first 2 shown]
	v_sub_u32_e32 v25, 32, v21
	v_alignbit_b32 v26, v19, v20, v25
	v_cmp_eq_u32_e64 s[12:13], 0, v21
	v_cndmask_b32_e64 v21, v26, v19, s[12:13]
	v_cndmask_b32_e32 v19, v24, v22, vcc
	v_cndmask_b32_e64 v0, v0, v19, s[8:9]
	v_cndmask_b32_e64 v22, v28, v0, s[10:11]
	v_cndmask_b32_e32 v18, v23, v18, vcc
	v_alignbit_b32 v24, v20, v22, v25
	v_cndmask_b32_e64 v18, v19, v18, s[8:9]
	v_cndmask_b32_e64 v20, v24, v20, s[12:13]
	v_bfe_u32 v27, v21, 29, 1
	v_cndmask_b32_e64 v0, v0, v18, s[10:11]
	v_alignbit_b32 v24, v21, v20, 30
	v_sub_u32_e32 v28, 0, v27
	v_alignbit_b32 v18, v22, v0, v25
	v_xor_b32_e32 v24, v24, v28
	v_cndmask_b32_e64 v18, v18, v22, s[12:13]
	v_alignbit_b32 v19, v20, v18, 30
	v_ffbh_u32_e32 v20, v24
	v_min_u32_e32 v20, 32, v20
	v_alignbit_b32 v0, v18, v0, 30
	v_xor_b32_e32 v19, v19, v28
	v_sub_u32_e32 v22, 31, v20
	v_xor_b32_e32 v0, v0, v28
	v_alignbit_b32 v23, v24, v19, v22
	v_alignbit_b32 v0, v19, v0, v22
	v_alignbit_b32 v18, v23, v0, 9
	v_ffbh_u32_e32 v19, v18
	v_min_u32_e32 v19, 32, v19
	v_lshrrev_b32_e32 v26, 29, v21
	v_not_b32_e32 v22, v19
	v_alignbit_b32 v0, v18, v0, v22
	v_lshlrev_b32_e32 v18, 31, v26
	v_or_b32_e32 v22, 0x33000000, v18
	v_add_lshl_u32 v19, v19, v20, 23
	v_lshrrev_b32_e32 v0, 9, v0
	v_sub_u32_e32 v19, v22, v19
	v_or_b32_e32 v18, 0.5, v18
	v_lshlrev_b32_e32 v20, 23, v20
	v_or_b32_e32 v0, v19, v0
	v_lshrrev_b32_e32 v19, 9, v23
	v_sub_u32_e32 v18, v18, v20
	v_or_b32_e32 v18, v19, v18
	v_mul_f32_e32 v19, 0x3fc90fda, v18
	v_fma_f32 v20, v18, s30, -v19
	v_fmac_f32_e32 v20, 0x33a22168, v18
	v_fmac_f32_e32 v20, 0x3fc90fda, v0
	v_lshrrev_b32_e32 v0, 30, v21
	v_add_f32_e32 v19, v19, v20
	v_add_u32_e32 v18, v27, v0
                                        ; implicit-def: $vgpr0
	s_andn2_saveexec_b64 s[8:9], s[16:17]
	s_cbranch_execnz .LBB1_9
	s_branch .LBB1_10
.LBB1_8:                                ;   in Loop: Header=BB1_2 Depth=1
	s_andn2_saveexec_b64 s[8:9], s[16:17]
.LBB1_9:                                ;   in Loop: Header=BB1_2 Depth=1
	v_cvt_i32_f32_e32 v18, v0
	v_fma_f32 v19, v0, s34, |v14|
	v_fmac_f32_e32 v19, 0xb3a22168, v0
	v_fmac_f32_e32 v19, 0xa7c234c4, v0
.LBB1_10:                               ;   in Loop: Header=BB1_2 Depth=1
	s_or_b64 exec, exec, s[8:9]
	v_mov_b32_e32 v0, s43
	v_add_co_u32_e32 v20, vcc, s42, v2
	v_addc_co_u32_e32 v21, vcc, v0, v3, vcc
	global_load_dword v20, v[20:21], off
                                        ; implicit-def: $vgpr23
	s_waitcnt vmcnt(0)
	v_and_b32_e32 v21, 0x7fffffff, v20
	v_lshrrev_b32_e32 v0, 23, v21
	v_and_b32_e32 v22, 0x7fffff, v21
	v_cmp_nlt_f32_e64 s[16:17], |v20|, s22
	v_add_u32_e32 v27, 0xffffff88, v0
	v_or_b32_e32 v26, 0x800000, v22
                                        ; implicit-def: $vgpr22
	s_and_saveexec_b64 s[8:9], s[16:17]
	s_xor_b64 s[18:19], exec, s[8:9]
	s_cbranch_execz .LBB1_12
; %bb.11:                               ;   in Loop: Header=BB1_2 Depth=1
	v_mad_u64_u32 v[22:23], s[8:9], v26, s23, 0
	v_cmp_lt_u32_e32 vcc, 63, v27
	v_mov_b32_e32 v0, v23
	v_mad_u64_u32 v[23:24], s[8:9], v26, s24, v[0:1]
	v_mov_b32_e32 v0, v24
	v_mad_u64_u32 v[24:25], s[8:9], v26, s25, v[0:1]
	;; [unrolled: 2-line block ×3, first 2 shown]
	v_cndmask_b32_e32 v0, 0, v11, vcc
	v_add_u32_e32 v25, v0, v27
	v_mov_b32_e32 v0, v29
	v_mad_u64_u32 v[29:30], s[8:9], v26, s27, v[0:1]
	v_cmp_lt_u32_e64 s[8:9], 31, v25
	v_cndmask_b32_e64 v0, 0, v12, s[8:9]
	v_add_u32_e32 v25, v0, v25
	v_mov_b32_e32 v0, v30
	v_mad_u64_u32 v[30:31], s[10:11], v26, s28, v[0:1]
	v_cmp_lt_u32_e64 s[10:11], 31, v25
	v_cndmask_b32_e64 v0, 0, v12, s[10:11]
	v_add_u32_e32 v25, v0, v25
	v_mov_b32_e32 v0, v31
	v_mad_u64_u32 v[31:32], s[12:13], v26, s29, v[0:1]
	v_cndmask_b32_e32 v0, v29, v24, vcc
	v_cndmask_b32_e32 v33, v30, v28, vcc
	;; [unrolled: 1-line block ×4, first 2 shown]
	v_cndmask_b32_e64 v34, v33, v0, s[8:9]
	v_cndmask_b32_e64 v31, v29, v33, s[8:9]
	v_cndmask_b32_e64 v29, v30, v29, s[8:9]
	v_cndmask_b32_e32 v23, v28, v23, vcc
	v_cndmask_b32_e64 v29, v29, v31, s[10:11]
	v_cndmask_b32_e64 v30, v31, v34, s[10:11]
	v_sub_u32_e32 v31, 32, v25
	v_cndmask_b32_e64 v0, v0, v23, s[8:9]
	v_alignbit_b32 v32, v29, v30, v31
	v_cmp_eq_u32_e64 s[12:13], 0, v25
	v_cndmask_b32_e64 v28, v34, v0, s[10:11]
	v_cndmask_b32_e64 v25, v32, v29, s[12:13]
	v_alignbit_b32 v29, v30, v28, v31
	v_cndmask_b32_e32 v22, v24, v22, vcc
	v_cndmask_b32_e64 v29, v29, v30, s[12:13]
	v_bfe_u32 v33, v25, 29, 1
	v_cndmask_b32_e64 v22, v23, v22, s[8:9]
	v_alignbit_b32 v30, v25, v29, 30
	v_sub_u32_e32 v34, 0, v33
	v_cndmask_b32_e64 v0, v0, v22, s[10:11]
	v_xor_b32_e32 v30, v30, v34
	v_alignbit_b32 v22, v28, v0, v31
	v_cndmask_b32_e64 v22, v22, v28, s[12:13]
	v_ffbh_u32_e32 v24, v30
	v_alignbit_b32 v23, v29, v22, 30
	v_min_u32_e32 v24, 32, v24
	v_alignbit_b32 v0, v22, v0, 30
	v_xor_b32_e32 v23, v23, v34
	v_sub_u32_e32 v28, 31, v24
	v_xor_b32_e32 v0, v0, v34
	v_alignbit_b32 v29, v30, v23, v28
	v_alignbit_b32 v0, v23, v0, v28
	;; [unrolled: 1-line block ×3, first 2 shown]
	v_ffbh_u32_e32 v23, v22
	v_min_u32_e32 v23, 32, v23
	v_lshrrev_b32_e32 v32, 29, v25
	v_not_b32_e32 v28, v23
	v_alignbit_b32 v0, v22, v0, v28
	v_lshlrev_b32_e32 v22, 31, v32
	v_or_b32_e32 v28, 0x33000000, v22
	v_add_lshl_u32 v23, v23, v24, 23
	v_lshrrev_b32_e32 v0, 9, v0
	v_sub_u32_e32 v23, v28, v23
	v_or_b32_e32 v22, 0.5, v22
	v_lshlrev_b32_e32 v24, 23, v24
	v_or_b32_e32 v0, v23, v0
	v_lshrrev_b32_e32 v23, 9, v29
	v_sub_u32_e32 v22, v22, v24
	v_or_b32_e32 v22, v23, v22
	v_mul_f32_e32 v23, 0x3fc90fda, v22
	v_fma_f32 v24, v22, s30, -v23
	v_fmac_f32_e32 v24, 0x33a22168, v22
	v_fmac_f32_e32 v24, 0x3fc90fda, v0
	v_lshrrev_b32_e32 v0, 30, v25
	v_add_f32_e32 v23, v23, v24
	v_add_u32_e32 v22, v33, v0
.LBB1_12:                               ;   in Loop: Header=BB1_2 Depth=1
	s_or_saveexec_b64 s[8:9], s[18:19]
	v_mul_f32_e64 v0, |v20|, s31
	v_rndne_f32_e32 v0, v0
	s_xor_b64 exec, exec, s[8:9]
; %bb.13:                               ;   in Loop: Header=BB1_2 Depth=1
	v_cvt_i32_f32_e32 v22, v0
	v_fma_f32 v23, v0, s34, |v20|
	v_fmac_f32_e32 v23, 0xb3a22168, v0
	v_fmac_f32_e32 v23, 0xa7c234c4, v0
; %bb.14:                               ;   in Loop: Header=BB1_2 Depth=1
	s_or_b64 exec, exec, s[8:9]
                                        ; implicit-def: $vgpr24
                                        ; implicit-def: $vgpr25
	s_and_saveexec_b64 s[8:9], s[16:17]
	s_xor_b64 s[16:17], exec, s[8:9]
	s_cbranch_execz .LBB1_16
; %bb.15:                               ;   in Loop: Header=BB1_2 Depth=1
	v_mad_u64_u32 v[24:25], s[8:9], v26, s23, 0
	v_cmp_lt_u32_e32 vcc, 63, v27
	v_mov_b32_e32 v0, v25
	v_mad_u64_u32 v[28:29], s[8:9], v26, s24, v[0:1]
	v_mov_b32_e32 v0, v29
	v_mad_u64_u32 v[29:30], s[8:9], v26, s25, v[0:1]
	;; [unrolled: 2-line block ×3, first 2 shown]
	v_cndmask_b32_e32 v0, 0, v11, vcc
	v_add_u32_e32 v25, v0, v27
	v_mov_b32_e32 v0, v31
	v_mad_u64_u32 v[31:32], s[8:9], v26, s27, v[0:1]
	v_cmp_lt_u32_e64 s[8:9], 31, v25
	v_cndmask_b32_e64 v0, 0, v12, s[8:9]
	v_add_u32_e32 v25, v0, v25
	v_mov_b32_e32 v0, v32
	v_mad_u64_u32 v[32:33], s[10:11], v26, s28, v[0:1]
	v_cmp_lt_u32_e64 s[10:11], 31, v25
	v_cndmask_b32_e64 v0, 0, v12, s[10:11]
	v_add_u32_e32 v27, v0, v25
	v_mov_b32_e32 v0, v33
	v_mad_u64_u32 v[25:26], s[12:13], v26, s29, v[0:1]
	v_cndmask_b32_e32 v0, v31, v29, vcc
	v_cndmask_b32_e32 v33, v32, v30, vcc
	;; [unrolled: 1-line block ×4, first 2 shown]
	v_cndmask_b32_e64 v34, v33, v0, s[8:9]
	v_cndmask_b32_e64 v31, v25, v33, s[8:9]
	;; [unrolled: 1-line block ×5, first 2 shown]
	v_sub_u32_e32 v31, 32, v27
	v_alignbit_b32 v32, v25, v26, v31
	v_cmp_eq_u32_e64 s[12:13], 0, v27
	v_cndmask_b32_e64 v27, v32, v25, s[12:13]
	v_cndmask_b32_e32 v25, v30, v28, vcc
	v_cndmask_b32_e64 v0, v0, v25, s[8:9]
	v_cndmask_b32_e64 v28, v34, v0, s[10:11]
	v_cndmask_b32_e32 v24, v29, v24, vcc
	v_alignbit_b32 v30, v26, v28, v31
	v_cndmask_b32_e64 v24, v25, v24, s[8:9]
	v_cndmask_b32_e64 v26, v30, v26, s[12:13]
	v_bfe_u32 v33, v27, 29, 1
	v_cndmask_b32_e64 v0, v0, v24, s[10:11]
	v_alignbit_b32 v30, v27, v26, 30
	v_sub_u32_e32 v34, 0, v33
	v_alignbit_b32 v24, v28, v0, v31
	v_xor_b32_e32 v30, v30, v34
	v_cndmask_b32_e64 v24, v24, v28, s[12:13]
	v_alignbit_b32 v25, v26, v24, 30
	v_ffbh_u32_e32 v26, v30
	v_min_u32_e32 v26, 32, v26
	v_alignbit_b32 v0, v24, v0, 30
	v_xor_b32_e32 v25, v25, v34
	v_sub_u32_e32 v28, 31, v26
	v_xor_b32_e32 v0, v0, v34
	v_alignbit_b32 v29, v30, v25, v28
	v_alignbit_b32 v0, v25, v0, v28
	;; [unrolled: 1-line block ×3, first 2 shown]
	v_ffbh_u32_e32 v25, v24
	v_min_u32_e32 v25, 32, v25
	v_lshrrev_b32_e32 v32, 29, v27
	v_not_b32_e32 v28, v25
	v_alignbit_b32 v0, v24, v0, v28
	v_lshlrev_b32_e32 v24, 31, v32
	v_or_b32_e32 v28, 0x33000000, v24
	v_add_lshl_u32 v25, v25, v26, 23
	v_lshrrev_b32_e32 v0, 9, v0
	v_sub_u32_e32 v25, v28, v25
	v_or_b32_e32 v24, 0.5, v24
	v_lshlrev_b32_e32 v26, 23, v26
	v_or_b32_e32 v0, v25, v0
	v_lshrrev_b32_e32 v25, 9, v29
	v_sub_u32_e32 v24, v24, v26
	v_or_b32_e32 v24, v25, v24
	v_mul_f32_e32 v25, 0x3fc90fda, v24
	v_fma_f32 v26, v24, s30, -v25
	v_fmac_f32_e32 v26, 0x33a22168, v24
	v_fmac_f32_e32 v26, 0x3fc90fda, v0
	v_lshrrev_b32_e32 v0, 30, v27
	v_add_f32_e32 v25, v25, v26
	v_add_u32_e32 v24, v33, v0
                                        ; implicit-def: $vgpr0
	s_andn2_saveexec_b64 s[8:9], s[16:17]
	s_cbranch_execnz .LBB1_17
	s_branch .LBB1_18
.LBB1_16:                               ;   in Loop: Header=BB1_2 Depth=1
	s_andn2_saveexec_b64 s[8:9], s[16:17]
.LBB1_17:                               ;   in Loop: Header=BB1_2 Depth=1
	v_cvt_i32_f32_e32 v24, v0
	v_fma_f32 v25, v0, s34, |v20|
	v_fmac_f32_e32 v25, 0xb3a22168, v0
	v_fmac_f32_e32 v25, 0xa7c234c4, v0
.LBB1_18:                               ;   in Loop: Header=BB1_2 Depth=1
	s_or_b64 exec, exec, s[8:9]
	v_mov_b32_e32 v0, s45
	v_add_co_u32_e32 v26, vcc, s44, v2
	v_addc_co_u32_e32 v27, vcc, v0, v3, vcc
	global_load_dword v26, v[26:27], off
                                        ; implicit-def: $vgpr29
                                        ; implicit-def: $vgpr30
	s_waitcnt vmcnt(0)
	v_and_b32_e32 v27, 0x7fffffff, v26
	v_lshrrev_b32_e32 v0, 23, v27
	v_and_b32_e32 v28, 0x7fffff, v27
	v_cmp_nlt_f32_e64 s[16:17], |v26|, s22
	v_add_u32_e32 v32, 0xffffff88, v0
	v_or_b32_e32 v31, 0x800000, v28
	s_and_saveexec_b64 s[8:9], s[16:17]
	s_xor_b64 s[18:19], exec, s[8:9]
	s_cbranch_execz .LBB1_20
; %bb.19:                               ;   in Loop: Header=BB1_2 Depth=1
	v_mad_u64_u32 v[28:29], s[8:9], v31, s23, 0
	v_cmp_lt_u32_e32 vcc, 63, v32
	v_mov_b32_e32 v0, v29
	v_mad_u64_u32 v[29:30], s[8:9], v31, s24, v[0:1]
	v_mov_b32_e32 v0, v30
	v_mad_u64_u32 v[33:34], s[8:9], v31, s25, v[0:1]
	;; [unrolled: 2-line block ×3, first 2 shown]
	v_cndmask_b32_e32 v0, 0, v11, vcc
	v_add_u32_e32 v30, v0, v32
	v_mov_b32_e32 v0, v35
	v_mad_u64_u32 v[35:36], s[8:9], v31, s27, v[0:1]
	v_cmp_lt_u32_e64 s[8:9], 31, v30
	v_cndmask_b32_e64 v0, 0, v12, s[8:9]
	v_add_u32_e32 v30, v0, v30
	v_mov_b32_e32 v0, v36
	v_mad_u64_u32 v[36:37], s[10:11], v31, s28, v[0:1]
	v_cmp_lt_u32_e64 s[10:11], 31, v30
	v_cndmask_b32_e64 v0, 0, v12, s[10:11]
	v_add_u32_e32 v30, v0, v30
	v_mov_b32_e32 v0, v37
	v_mad_u64_u32 v[37:38], s[12:13], v31, s29, v[0:1]
	v_cndmask_b32_e32 v0, v35, v33, vcc
	v_cndmask_b32_e32 v39, v36, v34, vcc
	;; [unrolled: 1-line block ×4, first 2 shown]
	v_cndmask_b32_e64 v40, v39, v0, s[8:9]
	v_cndmask_b32_e64 v37, v35, v39, s[8:9]
	;; [unrolled: 1-line block ×3, first 2 shown]
	v_cndmask_b32_e32 v29, v34, v29, vcc
	v_cndmask_b32_e64 v35, v35, v37, s[10:11]
	v_cndmask_b32_e64 v36, v37, v40, s[10:11]
	v_sub_u32_e32 v37, 32, v30
	v_cndmask_b32_e64 v0, v0, v29, s[8:9]
	v_alignbit_b32 v38, v35, v36, v37
	v_cmp_eq_u32_e64 s[12:13], 0, v30
	v_cndmask_b32_e64 v30, v40, v0, s[10:11]
	v_cndmask_b32_e64 v35, v38, v35, s[12:13]
	v_alignbit_b32 v34, v36, v30, v37
	v_cndmask_b32_e32 v28, v33, v28, vcc
	v_cndmask_b32_e64 v34, v34, v36, s[12:13]
	v_bfe_u32 v39, v35, 29, 1
	v_cndmask_b32_e64 v28, v29, v28, s[8:9]
	v_alignbit_b32 v36, v35, v34, 30
	v_sub_u32_e32 v40, 0, v39
	v_cndmask_b32_e64 v0, v0, v28, s[10:11]
	v_xor_b32_e32 v36, v36, v40
	v_alignbit_b32 v28, v30, v0, v37
	v_cndmask_b32_e64 v28, v28, v30, s[12:13]
	v_ffbh_u32_e32 v30, v36
	v_alignbit_b32 v29, v34, v28, 30
	v_min_u32_e32 v30, 32, v30
	v_alignbit_b32 v0, v28, v0, 30
	v_xor_b32_e32 v29, v29, v40
	v_sub_u32_e32 v33, 31, v30
	v_xor_b32_e32 v0, v0, v40
	v_alignbit_b32 v34, v36, v29, v33
	v_alignbit_b32 v0, v29, v0, v33
	;; [unrolled: 1-line block ×3, first 2 shown]
	v_ffbh_u32_e32 v29, v28
	v_min_u32_e32 v29, 32, v29
	v_lshrrev_b32_e32 v38, 29, v35
	v_not_b32_e32 v33, v29
	v_alignbit_b32 v0, v28, v0, v33
	v_lshlrev_b32_e32 v28, 31, v38
	v_or_b32_e32 v33, 0x33000000, v28
	v_add_lshl_u32 v29, v29, v30, 23
	v_lshrrev_b32_e32 v0, 9, v0
	v_sub_u32_e32 v29, v33, v29
	v_or_b32_e32 v28, 0.5, v28
	v_lshlrev_b32_e32 v30, 23, v30
	v_or_b32_e32 v0, v29, v0
	v_lshrrev_b32_e32 v29, 9, v34
	v_sub_u32_e32 v28, v28, v30
	v_or_b32_e32 v28, v29, v28
	v_mul_f32_e32 v29, 0x3fc90fda, v28
	v_fma_f32 v30, v28, s30, -v29
	v_fmac_f32_e32 v30, 0x33a22168, v28
	v_fmac_f32_e32 v30, 0x3fc90fda, v0
	v_lshrrev_b32_e32 v0, 30, v35
	v_add_f32_e32 v30, v29, v30
	v_add_u32_e32 v29, v39, v0
.LBB1_20:                               ;   in Loop: Header=BB1_2 Depth=1
	s_or_saveexec_b64 s[8:9], s[18:19]
	v_mul_f32_e64 v0, |v26|, s31
	v_rndne_f32_e32 v33, v0
	s_xor_b64 exec, exec, s[8:9]
; %bb.21:                               ;   in Loop: Header=BB1_2 Depth=1
	v_cvt_i32_f32_e32 v29, v33
	v_fma_f32 v30, v33, s34, |v26|
	v_fmac_f32_e32 v30, 0xb3a22168, v33
	v_fmac_f32_e32 v30, 0xa7c234c4, v33
; %bb.22:                               ;   in Loop: Header=BB1_2 Depth=1
	s_or_b64 exec, exec, s[8:9]
                                        ; implicit-def: $vgpr0
                                        ; implicit-def: $vgpr28
	s_and_saveexec_b64 s[8:9], s[16:17]
	s_xor_b64 s[16:17], exec, s[8:9]
	s_cbranch_execz .LBB1_24
; %bb.23:                               ;   in Loop: Header=BB1_2 Depth=1
	v_mad_u64_u32 v[33:34], s[8:9], v31, s23, 0
	v_cmp_lt_u32_e32 vcc, 63, v32
	v_mov_b32_e32 v0, v34
	v_mad_u64_u32 v[34:35], s[8:9], v31, s24, v[0:1]
	v_mov_b32_e32 v0, v35
	v_mad_u64_u32 v[35:36], s[8:9], v31, s25, v[0:1]
	;; [unrolled: 2-line block ×3, first 2 shown]
	v_cndmask_b32_e32 v0, 0, v11, vcc
	v_add_u32_e32 v28, v0, v32
	v_mov_b32_e32 v0, v37
	v_mad_u64_u32 v[37:38], s[8:9], v31, s27, v[0:1]
	v_cmp_lt_u32_e64 s[8:9], 31, v28
	v_cndmask_b32_e64 v0, 0, v12, s[8:9]
	v_add_u32_e32 v28, v0, v28
	v_mov_b32_e32 v0, v38
	v_mad_u64_u32 v[38:39], s[10:11], v31, s28, v[0:1]
	v_cmp_lt_u32_e64 s[10:11], 31, v28
	v_cndmask_b32_e64 v0, 0, v12, s[10:11]
	v_add_u32_e32 v28, v0, v28
	v_mov_b32_e32 v0, v39
	v_mad_u64_u32 v[31:32], s[12:13], v31, s29, v[0:1]
	v_cndmask_b32_e32 v0, v37, v35, vcc
	v_cndmask_b32_e32 v39, v38, v36, vcc
	;; [unrolled: 1-line block ×4, first 2 shown]
	v_cndmask_b32_e64 v40, v39, v0, s[8:9]
	v_cndmask_b32_e64 v37, v31, v39, s[8:9]
	;; [unrolled: 1-line block ×5, first 2 shown]
	v_sub_u32_e32 v37, 32, v28
	v_cmp_eq_u32_e64 s[12:13], 0, v28
	v_cndmask_b32_e32 v28, v36, v34, vcc
	v_cndmask_b32_e64 v0, v0, v28, s[8:9]
	v_alignbit_b32 v38, v31, v32, v37
	v_cndmask_b32_e64 v34, v40, v0, s[10:11]
	v_cndmask_b32_e64 v31, v38, v31, s[12:13]
	v_alignbit_b32 v36, v32, v34, v37
	v_cndmask_b32_e32 v33, v35, v33, vcc
	v_cndmask_b32_e64 v32, v36, v32, s[12:13]
	v_bfe_u32 v39, v31, 29, 1
	v_cndmask_b32_e64 v28, v28, v33, s[8:9]
	v_alignbit_b32 v36, v31, v32, 30
	v_sub_u32_e32 v40, 0, v39
	v_cndmask_b32_e64 v0, v0, v28, s[10:11]
	v_xor_b32_e32 v36, v36, v40
	v_alignbit_b32 v28, v34, v0, v37
	v_cndmask_b32_e64 v28, v28, v34, s[12:13]
	v_ffbh_u32_e32 v33, v36
	v_alignbit_b32 v32, v32, v28, 30
	v_min_u32_e32 v33, 32, v33
	v_alignbit_b32 v0, v28, v0, 30
	v_xor_b32_e32 v32, v32, v40
	v_sub_u32_e32 v34, 31, v33
	v_xor_b32_e32 v0, v0, v40
	v_alignbit_b32 v35, v36, v32, v34
	v_alignbit_b32 v0, v32, v0, v34
	;; [unrolled: 1-line block ×3, first 2 shown]
	v_ffbh_u32_e32 v32, v28
	v_min_u32_e32 v32, 32, v32
	v_lshrrev_b32_e32 v38, 29, v31
	v_not_b32_e32 v34, v32
	v_alignbit_b32 v0, v28, v0, v34
	v_lshlrev_b32_e32 v28, 31, v38
	v_or_b32_e32 v34, 0x33000000, v28
	v_add_lshl_u32 v32, v32, v33, 23
	v_lshrrev_b32_e32 v0, 9, v0
	v_sub_u32_e32 v32, v34, v32
	v_or_b32_e32 v28, 0.5, v28
	v_lshlrev_b32_e32 v33, 23, v33
	v_or_b32_e32 v0, v32, v0
	v_lshrrev_b32_e32 v32, 9, v35
	v_sub_u32_e32 v28, v28, v33
	v_or_b32_e32 v28, v32, v28
	v_mul_f32_e32 v32, 0x3fc90fda, v28
	v_fma_f32 v33, v28, s30, -v32
	v_fmac_f32_e32 v33, 0x33a22168, v28
	v_fmac_f32_e32 v33, 0x3fc90fda, v0
	v_lshrrev_b32_e32 v0, 30, v31
	v_add_f32_e32 v28, v32, v33
	v_add_u32_e32 v0, v39, v0
                                        ; implicit-def: $vgpr33
	s_andn2_saveexec_b64 s[8:9], s[16:17]
	s_cbranch_execz .LBB1_1
	s_branch .LBB1_25
.LBB1_24:                               ;   in Loop: Header=BB1_2 Depth=1
	s_andn2_saveexec_b64 s[8:9], s[16:17]
	s_cbranch_execz .LBB1_1
.LBB1_25:                               ;   in Loop: Header=BB1_2 Depth=1
	v_cvt_i32_f32_e32 v0, v33
	v_fma_f32 v28, v33, s34, |v26|
	v_fmac_f32_e32 v28, 0xb3a22168, v33
	v_fmac_f32_e32 v28, 0xa7c234c4, v33
	s_branch .LBB1_1
.LBB1_26:
	buffer_load_dword v11, off, s[0:3], 0 offset:40
	buffer_load_dword v12, off, s[0:3], 0 offset:44
	;; [unrolled: 1-line block ×24, first 2 shown]
	buffer_load_dword v27, off, s[0:3], 0
	buffer_load_dword v17, off, s[0:3], 0 offset:4
	s_load_dwordx2 s[8:9], s[4:5], 0x0
	s_load_dwordx4 s[28:31], s[4:5], 0x48
	v_mov_b32_e32 v37, 0
	s_movk_i32 s46, 0x46
	s_movk_i32 s47, 0x45
	s_waitcnt lgkmcnt(0)
	s_max_i32 s44, s9, 1
	s_max_i32 s45, s8, 1
	s_add_u32 s34, s36, 8
	s_addc_u32 s35, s37, 0
	s_mov_b32 s37, 0
	s_mov_b32 s48, 0xf800000
	v_mov_b32_e32 v38, 0x260
	v_mov_b32_e32 v39, 0x40b00000
	;; [unrolled: 1-line block ×5, first 2 shown]
	s_mov_b32 s36, s37
.LBB1_27:                               ; =>This Loop Header: Depth=1
                                        ;     Child Loop BB1_28 Depth 2
	s_lshl_b64 s[4:5], s[36:37], 4
	s_add_u32 s4, s38, s4
	s_addc_u32 s5, s39, s5
	global_load_dwordx4 v[4:7], v37, s[4:5]
	v_mov_b32_e32 v2, s31
	s_mov_b32 s49, s44
	s_mov_b64 s[40:41], s[34:35]
	s_waitcnt vmcnt(0)
	v_ashrrev_i32_e32 v1, 31, v7
	v_mov_b32_e32 v0, v7
	v_lshlrev_b64 v[0:1], 4, v[0:1]
	v_fma_f32 v43, v4, v31, v34
	v_add_co_u32_e32 v0, vcc, s30, v0
	v_addc_co_u32_e32 v1, vcc, v2, v1, vcc
	global_load_dwordx4 v[0:3], v[0:1], off
	v_fma_f32 v44, v4, v35, v12
	v_fma_f32 v45, v4, v13, v16
	;; [unrolled: 1-line block ×5, first 2 shown]
	v_fmac_f32_e32 v43, v5, v32
	v_fmac_f32_e32 v44, v5, v36
	;; [unrolled: 1-line block ×12, first 2 shown]
	s_waitcnt vmcnt(0)
	v_cmp_gt_f32_e64 s[12:13], 0, v2
	v_cmp_lt_f32_e64 s[4:5], 0, v2
	v_cmp_eq_u32_e64 s[8:9], s46, v0
	v_cmp_eq_u32_e64 s[10:11], s47, v0
	v_cndmask_b32_e64 v0, 1.0, v39, s[12:13]
	v_cndmask_b32_e64 v49, v40, 1.0, s[12:13]
.LBB1_28:                               ;   Parent Loop BB1_27 Depth=1
                                        ; =>  This Inner Loop Header: Depth=2
	global_load_dwordx4 v[4:7], v37, s[40:41] offset:-8
	v_mov_b32_e32 v50, s31
	s_waitcnt vmcnt(0)
	v_ashrrev_i32_e32 v10, 31, v7
	v_mov_b32_e32 v9, v7
	v_sub_f32_e32 v7, v43, v4
	v_sub_f32_e32 v51, v44, v5
	;; [unrolled: 1-line block ×4, first 2 shown]
	v_lshlrev_b64 v[4:5], 4, v[9:10]
	v_mul_f32_e32 v10, v54, v54
	v_add_co_u32_e32 v4, vcc, s30, v4
	v_sub_f32_e32 v52, v45, v6
	v_sub_f32_e32 v6, v48, v6
	v_mul_f32_e32 v9, v51, v51
	v_fmac_f32_e32 v10, v53, v53
	v_addc_co_u32_e32 v5, vcc, v50, v5, vcc
	v_fmac_f32_e32 v9, v7, v7
	v_fmac_f32_e32 v10, v6, v6
	global_load_dwordx4 v[4:7], v[4:5], off
	v_fmac_f32_e32 v9, v52, v52
	v_cmp_gt_f32_e64 s[14:15], s48, v10
	v_mul_f32_e32 v51, 0x4f800000, v10
	v_cmp_gt_f32_e32 vcc, s48, v9
	v_mul_f32_e32 v50, 0x4f800000, v9
	v_cndmask_b32_e64 v10, v10, v51, s[14:15]
	v_cndmask_b32_e32 v9, v9, v50, vcc
	v_sqrt_f32_e32 v51, v10
	v_sqrt_f32_e32 v50, v9
	v_cmp_class_f32_e64 s[18:19], v10, v38
	v_cmp_class_f32_e64 s[16:17], v9, v38
	v_add_u32_e32 v54, -1, v51
	v_add_u32_e32 v52, -1, v50
	v_add_u32_e32 v55, 1, v51
	v_fma_f32 v58, -v54, v51, v10
	v_add_u32_e32 v53, 1, v50
	v_fma_f32 v56, -v52, v50, v9
	v_fma_f32 v59, -v55, v51, v10
	v_cmp_ge_f32_e64 s[24:25], 0, v58
	v_fma_f32 v57, -v53, v50, v9
	v_cmp_ge_f32_e64 s[20:21], 0, v56
	v_cmp_lt_f32_e64 s[26:27], 0, v59
	v_cndmask_b32_e64 v51, v51, v54, s[24:25]
	v_cmp_lt_f32_e64 s[22:23], 0, v57
	v_cndmask_b32_e64 v50, v50, v52, s[20:21]
	v_cndmask_b32_e64 v51, v51, v55, s[26:27]
	;; [unrolled: 1-line block ×3, first 2 shown]
	v_mul_f32_e32 v53, 0x37800000, v51
	v_mul_f32_e32 v52, 0x37800000, v50
	v_cndmask_b32_e64 v51, v51, v53, s[14:15]
	v_cndmask_b32_e32 v50, v50, v52, vcc
	v_cndmask_b32_e64 v10, v51, v10, s[18:19]
	v_cndmask_b32_e64 v9, v50, v9, s[16:17]
	s_waitcnt vmcnt(0)
	v_add_f32_e32 v5, v1, v5
	v_cmp_eq_u32_e64 s[14:15], s46, v4
	v_cmp_gt_f32_e64 s[18:19], 0, v6
	v_div_scale_f32 v52, s[24:25], v5, v5, 1.0
	v_mul_f32_e32 v50, v3, v7
	s_and_b64 s[14:15], s[14:15], s[8:9]
	v_cndmask_b32_e64 v7, v49, v0, s[18:19]
	v_cndmask_b32_e64 v54, 2.0, 4.0, s[14:15]
	v_cndmask_b32_e64 v55, 0.5, v41, s[14:15]
	v_div_scale_f32 v57, s[14:15], v7, v7, 1.0
	v_div_scale_f32 v53, vcc, 1.0, v5, 1.0
	v_cmp_eq_u32_e64 s[16:17], s47, v4
	s_or_b64 s[42:43], s[16:17], s[10:11]
	s_and_b64 s[16:17], s[18:19], s[4:5]
	v_div_scale_f32 v58, s[18:19], 1.0, v7, 1.0
	v_cmp_lt_f32_e64 s[20:21], 0, v6
	s_and_b64 s[20:21], s[20:21], s[12:13]
	v_sub_f32_e32 v4, v9, v5
	v_cmp_neq_f32_e64 s[22:23], 0, v6
	v_cndmask_b32_e64 v6, v6, -v6, s[16:17]
	v_cndmask_b32_e64 v56, v2, -v2, s[20:21]
	v_cmp_lt_f32_e64 s[20:21], v4, v7
	v_sub_f32_e32 v51, v10, v5
	v_cmp_gt_f32_e64 s[14:15], 0, v4
	v_add_f32_e32 v6, v6, v56
	v_fma_f32 v56, -v55, v4, 1.0
	v_cmp_lt_f32_e64 s[26:27], v4, v54
	s_and_b64 s[50:51], s[22:23], s[20:21]
	v_cmp_lt_f32_e64 s[20:21], v51, v54
	v_cndmask_b32_e64 v54, v56, 1.0, s[14:15]
	v_cndmask_b32_e64 v56, 0, 1.0, s[26:27]
	;; [unrolled: 1-line block ×3, first 2 shown]
	v_cmp_gt_f32_e64 s[16:17], 0, v51
	v_fma_f32 v55, -v55, v51, 1.0
	v_mul_f32_e32 v54, v56, v54
	v_mul_f32_e32 v56, v6, v59
	v_rcp_f32_e32 v59, v52
	v_cmp_lt_f32_e64 s[24:25], v51, v7
	v_cndmask_b32_e64 v55, v55, 1.0, s[16:17]
	v_cndmask_b32_e64 v60, 0, 1.0, s[20:21]
	s_and_b64 s[22:23], s[22:23], s[24:25]
	v_mul_f32_e32 v55, v60, v55
	v_rcp_f32_e32 v60, v57
	v_cndmask_b32_e64 v61, 0, 1.0, s[22:23]
	v_mul_f32_e32 v6, v6, v61
	v_fma_f32 v61, -v52, v59, 1.0
	v_fmac_f32_e32 v59, v61, v59
	v_fma_f32 v61, -v57, v60, 1.0
	v_mul_f32_e32 v62, v53, v59
	v_fmac_f32_e32 v60, v61, v60
	v_fma_f32 v61, -v52, v62, v53
	v_fmac_f32_e32 v62, v61, v59
	v_fma_f32 v52, -v52, v62, v53
	v_div_fmas_f32 v52, v52, v59, v62
	v_mul_f32_e32 v59, v58, v60
	v_fma_f32 v62, -v57, v59, v58
	v_fmac_f32_e32 v59, v62, v60
	v_fma_f32 v57, -v57, v59, v58
	s_mov_b64 vcc, s[18:19]
	v_div_fmas_f32 v57, v57, v60, v59
	v_cndmask_b32_e64 v61, 0, v42, s[14:15]
	v_cndmask_b32_e64 v53, 0, v42, s[16:17]
	v_mul_f32_e32 v54, v50, v54
	v_mul_f32_e32 v50, v50, v55
	s_add_u32 s40, s40, 16
	v_cndmask_b32_e64 v54, v54, -|v54|, s[42:43]
	v_cndmask_b32_e64 v50, v50, -|v50|, s[42:43]
	s_addc_u32 s41, s41, 0
	s_add_i32 s49, s49, -1
	v_div_fixup_f32 v5, v52, v5, 1.0
	v_fma_f32 v9, -v5, v9, 1.0
	v_fma_f32 v5, -v5, v10, 1.0
	v_fmac_f32_e32 v27, v9, v61
	v_fmac_f32_e32 v17, v5, v53
	;; [unrolled: 1-line block ×3, first 2 shown]
	v_div_fixup_f32 v7, v57, v7, 1.0
	v_fma_f32 v4, -v7, v4, 1.0
	v_fma_f32 v5, -v7, v51, 1.0
	v_cndmask_b32_e64 v4, v4, 1.0, s[14:15]
	v_fmac_f32_e32 v17, 0x42340000, v50
	v_cndmask_b32_e64 v5, v5, 1.0, s[16:17]
	s_cmp_lg_u32 s49, 0
	v_fmac_f32_e32 v27, v4, v56
	v_fmac_f32_e32 v17, v5, v6
	s_cbranch_scc1 .LBB1_28
; %bb.29:                               ;   in Loop: Header=BB1_27 Depth=1
	s_add_i32 s36, s36, 1
	s_cmp_lg_u32 s36, s45
	s_cbranch_scc1 .LBB1_27
; %bb.30:
	buffer_store_dword v27, off, s[0:3], 0
	buffer_store_dword v17, off, s[0:3], 0 offset:4
	s_and_saveexec_b64 s[4:5], s[6:7]
	s_cbranch_execz .LBB1_32
; %bb.31:
	v_mov_b32_e32 v9, 0
	v_lshlrev_b64 v[0:1], 2, v[8:9]
	v_mov_b32_e32 v3, s29
	v_add_co_u32_e32 v0, vcc, s28, v0
	v_mul_f32_e32 v2, 0.5, v27
	v_addc_co_u32_e32 v1, vcc, v3, v1, vcc
	v_add_u32_e32 v8, s33, v8
	global_store_dword v[0:1], v2, off
	v_lshlrev_b64 v[0:1], 2, v[8:9]
	v_mul_f32_e32 v2, 0.5, v17
	v_add_co_u32_e32 v0, vcc, s28, v0
	v_addc_co_u32_e32 v1, vcc, v3, v1, vcc
	global_store_dword v[0:1], v2, off
.LBB1_32:
	s_endpgm
	.section	.rodata,"a",@progbits
	.p2align	6, 0x0
	.amdhsa_kernel _ZL11fasten_mainILm2EEviiPK4AtomS2_PKfS4_S4_S4_S4_S4_PfPK8FFParamsi
		.amdhsa_group_segment_fixed_size 0
		.amdhsa_private_segment_fixed_size 128
		.amdhsa_kernarg_size 352
		.amdhsa_user_sgpr_count 6
		.amdhsa_user_sgpr_private_segment_buffer 1
		.amdhsa_user_sgpr_dispatch_ptr 0
		.amdhsa_user_sgpr_queue_ptr 0
		.amdhsa_user_sgpr_kernarg_segment_ptr 1
		.amdhsa_user_sgpr_dispatch_id 0
		.amdhsa_user_sgpr_flat_scratch_init 0
		.amdhsa_user_sgpr_private_segment_size 0
		.amdhsa_uses_dynamic_stack 0
		.amdhsa_system_sgpr_private_segment_wavefront_offset 1
		.amdhsa_system_sgpr_workgroup_id_x 1
		.amdhsa_system_sgpr_workgroup_id_y 0
		.amdhsa_system_sgpr_workgroup_id_z 0
		.amdhsa_system_sgpr_workgroup_info 0
		.amdhsa_system_vgpr_workitem_id 0
		.amdhsa_next_free_vgpr 63
		.amdhsa_next_free_sgpr 53
		.amdhsa_reserve_vcc 1
		.amdhsa_reserve_flat_scratch 0
		.amdhsa_float_round_mode_32 0
		.amdhsa_float_round_mode_16_64 0
		.amdhsa_float_denorm_mode_32 3
		.amdhsa_float_denorm_mode_16_64 3
		.amdhsa_dx10_clamp 1
		.amdhsa_ieee_mode 1
		.amdhsa_fp16_overflow 0
		.amdhsa_exception_fp_ieee_invalid_op 0
		.amdhsa_exception_fp_denorm_src 0
		.amdhsa_exception_fp_ieee_div_zero 0
		.amdhsa_exception_fp_ieee_overflow 0
		.amdhsa_exception_fp_ieee_underflow 0
		.amdhsa_exception_fp_ieee_inexact 0
		.amdhsa_exception_int_div_zero 0
	.end_amdhsa_kernel
	.section	.text._ZL11fasten_mainILm2EEviiPK4AtomS2_PKfS4_S4_S4_S4_S4_PfPK8FFParamsi,"axG",@progbits,_ZL11fasten_mainILm2EEviiPK4AtomS2_PKfS4_S4_S4_S4_S4_PfPK8FFParamsi,comdat
.Lfunc_end1:
	.size	_ZL11fasten_mainILm2EEviiPK4AtomS2_PKfS4_S4_S4_S4_S4_PfPK8FFParamsi, .Lfunc_end1-_ZL11fasten_mainILm2EEviiPK4AtomS2_PKfS4_S4_S4_S4_S4_PfPK8FFParamsi
                                        ; -- End function
	.set _ZL11fasten_mainILm2EEviiPK4AtomS2_PKfS4_S4_S4_S4_S4_PfPK8FFParamsi.num_vgpr, 63
	.set _ZL11fasten_mainILm2EEviiPK4AtomS2_PKfS4_S4_S4_S4_S4_PfPK8FFParamsi.num_agpr, 0
	.set _ZL11fasten_mainILm2EEviiPK4AtomS2_PKfS4_S4_S4_S4_S4_PfPK8FFParamsi.numbered_sgpr, 53
	.set _ZL11fasten_mainILm2EEviiPK4AtomS2_PKfS4_S4_S4_S4_S4_PfPK8FFParamsi.num_named_barrier, 0
	.set _ZL11fasten_mainILm2EEviiPK4AtomS2_PKfS4_S4_S4_S4_S4_PfPK8FFParamsi.private_seg_size, 128
	.set _ZL11fasten_mainILm2EEviiPK4AtomS2_PKfS4_S4_S4_S4_S4_PfPK8FFParamsi.uses_vcc, 1
	.set _ZL11fasten_mainILm2EEviiPK4AtomS2_PKfS4_S4_S4_S4_S4_PfPK8FFParamsi.uses_flat_scratch, 0
	.set _ZL11fasten_mainILm2EEviiPK4AtomS2_PKfS4_S4_S4_S4_S4_PfPK8FFParamsi.has_dyn_sized_stack, 0
	.set _ZL11fasten_mainILm2EEviiPK4AtomS2_PKfS4_S4_S4_S4_S4_PfPK8FFParamsi.has_recursion, 0
	.set _ZL11fasten_mainILm2EEviiPK4AtomS2_PKfS4_S4_S4_S4_S4_PfPK8FFParamsi.has_indirect_call, 0
	.section	.AMDGPU.csdata,"",@progbits
; Kernel info:
; codeLenInByte = 6352
; TotalNumSgprs: 57
; NumVgprs: 63
; ScratchSize: 128
; MemoryBound: 0
; FloatMode: 240
; IeeeMode: 1
; LDSByteSize: 0 bytes/workgroup (compile time only)
; SGPRBlocks: 7
; VGPRBlocks: 15
; NumSGPRsForWavesPerEU: 57
; NumVGPRsForWavesPerEU: 63
; Occupancy: 4
; WaveLimiterHint : 1
; COMPUTE_PGM_RSRC2:SCRATCH_EN: 1
; COMPUTE_PGM_RSRC2:USER_SGPR: 6
; COMPUTE_PGM_RSRC2:TRAP_HANDLER: 0
; COMPUTE_PGM_RSRC2:TGID_X_EN: 1
; COMPUTE_PGM_RSRC2:TGID_Y_EN: 0
; COMPUTE_PGM_RSRC2:TGID_Z_EN: 0
; COMPUTE_PGM_RSRC2:TIDIG_COMP_CNT: 0
	.section	.text._ZL11fasten_mainILm4EEviiPK4AtomS2_PKfS4_S4_S4_S4_S4_PfPK8FFParamsi,"axG",@progbits,_ZL11fasten_mainILm4EEviiPK4AtomS2_PKfS4_S4_S4_S4_S4_PfPK8FFParamsi,comdat
	.globl	_ZL11fasten_mainILm4EEviiPK4AtomS2_PKfS4_S4_S4_S4_S4_PfPK8FFParamsi ; -- Begin function _ZL11fasten_mainILm4EEviiPK4AtomS2_PKfS4_S4_S4_S4_S4_PfPK8FFParamsi
	.p2align	8
	.type	_ZL11fasten_mainILm4EEviiPK4AtomS2_PKfS4_S4_S4_S4_S4_PfPK8FFParamsi,@function
_ZL11fasten_mainILm4EEviiPK4AtomS2_PKfS4_S4_S4_S4_S4_PfPK8FFParamsi: ; @_ZL11fasten_mainILm4EEviiPK4AtomS2_PKfS4_S4_S4_S4_S4_PfPK8FFParamsi
; %bb.0:
	s_add_u32 s0, s0, s7
	s_load_dword s7, s[4:5], 0x6c
	s_load_dword s8, s[4:5], 0x58
	s_load_dwordx16 s[16:31], s[4:5], 0x8
	s_addc_u32 s1, s1, 0
	s_mov_b32 s37, 0
	s_waitcnt lgkmcnt(0)
	s_and_b32 s33, s7, 0xffff
	s_mul_i32 s6, s6, s33
	v_lshl_add_u32 v2, s6, 2, v0
	v_mov_b32_e32 v1, v2
	v_cmp_gt_i32_e64 s[14:15], s8, v2
	buffer_store_dword v1, off, s[0:3], 0 offset:304 ; 4-byte Folded Spill
	s_nop 0
	buffer_store_dword v2, off, s[0:3], 0 offset:308 ; 4-byte Folded Spill
	s_add_i32 s6, s8, -4
	v_mov_b32_e32 v0, s6
	s_lshl_b32 s36, s33, 2
	s_mov_b32 s38, 16
	s_brev_b32 s39, 18
	s_mov_b32 s40, 0xfe5163ab
	v_mov_b32_e32 v3, 0
	s_mov_b32 s41, 0x3c439041
	s_mov_b32 s42, 0xdb629599
	;; [unrolled: 1-line block ×9, first 2 shown]
	v_mov_b32_e32 v4, 0xbe2aaa9d
	v_mov_b32_e32 v5, 0x3d2aabf7
	;; [unrolled: 1-line block ×3, first 2 shown]
	s_movk_i32 s50, 0x1f8
	v_not_b32_e32 v7, 63
	v_not_b32_e32 v8, 31
	v_mov_b32_e32 v9, 0x7fc00000
	v_cndmask_b32_e64 v0, v0, v2, s[14:15]
	v_ashrrev_i32_e32 v1, 31, v0
	v_lshlrev_b64 v[0:1], 2, v[0:1]
	s_branch .LBB2_2
.LBB2_1:                                ;   in Loop: Header=BB2_2 Depth=1
	s_or_b64 exec, exec, s[6:7]
	v_mul_f32_e32 v26, v27, v27
	v_mov_b32_e32 v28, 0x3c0881c4
	v_fmac_f32_e32 v28, 0xb94c1982, v26
	v_fma_f32 v28, v26, v28, v4
	v_mul_f32_e32 v28, v26, v28
	v_fmac_f32_e32 v27, v27, v28
	v_mov_b32_e32 v28, 0xbab64f3b
	v_fmac_f32_e32 v28, 0x37d75334, v26
	v_fma_f32 v28, v26, v28, v5
	v_fma_f32 v28, v26, v28, v6
	v_fma_f32 v26, v26, v28, 1.0
	v_and_b32_e32 v28, 1, v25
	v_lshlrev_b32_e32 v25, 30, v25
	v_cmp_eq_u32_e32 vcc, 0, v28
	v_and_b32_e32 v25, 0x80000000, v25
	v_xor_b32_e32 v23, v23, v22
	v_cndmask_b32_e32 v26, v26, v27, vcc
	v_xor_b32_e32 v23, v23, v25
	v_xor_b32_e32 v23, v23, v26
	v_cmp_class_f32_e64 vcc, v22, s50
	v_cndmask_b32_e32 v22, v9, v23, vcc
	v_mul_f32_e32 v23, v21, v21
	v_mov_b32_e32 v25, 0x3c0881c4
	v_fmac_f32_e32 v25, 0xb94c1982, v23
	v_fma_f32 v25, v23, v25, v4
	v_mul_f32_e32 v25, v23, v25
	v_fmac_f32_e32 v21, v21, v25
	v_mov_b32_e32 v25, 0xbab64f3b
	v_fmac_f32_e32 v25, 0x37d75334, v23
	v_fma_f32 v25, v23, v25, v5
	v_fma_f32 v25, v23, v25, v6
	v_fma_f32 v23, v23, v25, 1.0
	v_and_b32_e32 v25, 1, v20
	v_cmp_eq_u32_e64 s[6:7], 0, v25
	v_lshlrev_b32_e32 v20, 30, v20
	v_cndmask_b32_e64 v21, -v21, v23, s[6:7]
	v_and_b32_e32 v20, 0x80000000, v20
	v_xor_b32_e32 v20, v20, v21
	v_mul_f32_e32 v21, v19, v19
	v_mov_b32_e32 v23, 0x3c0881c4
	v_fmac_f32_e32 v23, 0xb94c1982, v21
	v_fma_f32 v23, v21, v23, v4
	v_mul_f32_e32 v23, v21, v23
	v_fmac_f32_e32 v19, v19, v23
	v_mov_b32_e32 v23, 0xbab64f3b
	v_fmac_f32_e32 v23, 0x37d75334, v21
	v_fma_f32 v23, v21, v23, v5
	v_fma_f32 v23, v21, v23, v6
	v_fma_f32 v21, v21, v23, 1.0
	v_and_b32_e32 v23, 1, v18
	v_lshlrev_b32_e32 v18, 30, v18
	v_cmp_class_f32_e64 s[6:7], v16, s50
	v_cmp_eq_u32_e64 s[8:9], 0, v23
	v_and_b32_e32 v18, 0x80000000, v18
	v_xor_b32_e32 v16, v17, v16
	v_cndmask_b32_e64 v19, v21, v19, s[8:9]
	v_xor_b32_e32 v16, v16, v18
	v_xor_b32_e32 v16, v16, v19
	v_cndmask_b32_e64 v20, v9, v20, s[6:7]
	v_cndmask_b32_e64 v16, v9, v16, s[6:7]
	v_mov_b32_e32 v18, s27
	v_add_co_u32_e64 v17, s[6:7], s26, v0
	v_addc_co_u32_e64 v18, s[6:7], v18, v1, s[6:7]
	v_mul_f32_e32 v19, v15, v15
	global_load_dword v21, v[17:18], off
	v_mov_b32_e32 v17, 0x3c0881c4
	v_fmac_f32_e32 v17, 0xb94c1982, v19
	v_fma_f32 v23, v19, v17, v4
	v_mov_b32_e32 v18, s29
	v_add_co_u32_e64 v17, s[6:7], s28, v0
	v_addc_co_u32_e64 v18, s[6:7], v18, v1, s[6:7]
	global_load_dword v25, v[17:18], off
	v_mov_b32_e32 v18, s31
	v_add_co_u32_e64 v17, s[6:7], s30, v0
	v_addc_co_u32_e64 v18, s[6:7], v18, v1, s[6:7]
	global_load_dword v17, v[17:18], off
	v_mov_b32_e32 v18, 0xbab64f3b
	v_fmac_f32_e32 v18, 0x37d75334, v19
	v_fma_f32 v18, v19, v18, v5
	v_fma_f32 v18, v19, v18, v6
	v_mul_f32_e32 v23, v19, v23
	v_fma_f32 v18, v19, v18, 1.0
	v_and_b32_e32 v19, 1, v14
	v_fmac_f32_e32 v15, v15, v23
	v_cmp_eq_u32_e64 s[6:7], 0, v19
	v_lshlrev_b32_e32 v14, 30, v14
	v_cndmask_b32_e64 v15, -v15, v18, s[6:7]
	v_and_b32_e32 v14, 0x80000000, v14
	v_xor_b32_e32 v14, v14, v15
	v_mul_f32_e32 v15, v13, v13
	v_mov_b32_e32 v18, 0x3c0881c4
	v_fmac_f32_e32 v18, 0xb94c1982, v15
	v_fma_f32 v18, v15, v18, v4
	v_mul_f32_e32 v18, v15, v18
	v_fmac_f32_e32 v13, v13, v18
	v_mov_b32_e32 v18, 0xbab64f3b
	v_fmac_f32_e32 v18, 0x37d75334, v15
	v_fma_f32 v18, v15, v18, v5
	v_fma_f32 v18, v15, v18, v6
	v_fma_f32 v15, v15, v18, 1.0
	v_and_b32_e32 v18, 1, v12
	v_lshlrev_b32_e32 v12, 30, v12
	v_cmp_class_f32_e64 s[6:7], v10, s50
	v_and_b32_e32 v12, 0x80000000, v12
	v_xor_b32_e32 v10, v11, v10
	v_xor_b32_e32 v10, v10, v12
	v_mul_f32_e32 v11, v24, v24
	v_mov_b32_e32 v12, 0x3c0881c4
	v_fmac_f32_e32 v12, 0xb94c1982, v11
	v_fma_f32 v12, v11, v12, v4
	v_mul_f32_e32 v12, v11, v12
	v_fmac_f32_e32 v24, v24, v12
	v_mov_b32_e32 v12, 0xbab64f3b
	v_fmac_f32_e32 v12, 0x37d75334, v11
	v_cmp_eq_u32_e64 s[8:9], 0, v18
	v_fma_f32 v12, v11, v12, v5
	v_cndmask_b32_e64 v13, v15, v13, s[8:9]
	v_fma_f32 v12, v11, v12, v6
	v_xor_b32_e32 v10, v10, v13
	v_fma_f32 v11, v11, v12, 1.0
	v_and_b32_e32 v12, 1, v2
	v_cndmask_b32_e64 v14, v9, v14, s[6:7]
	v_cndmask_b32_e64 v10, v9, v10, s[6:7]
	v_cmp_eq_u32_e64 s[6:7], 0, v12
	v_lshlrev_b32_e32 v2, 30, v2
	v_cndmask_b32_e64 v11, -v24, v11, s[6:7]
	v_and_b32_e32 v2, 0x80000000, v2
	v_xor_b32_e32 v2, v2, v11
	v_cndmask_b32_e32 v2, v9, v2, vcc
	v_mul_f32_e32 v11, v20, v2
	v_mov_b32_e32 v12, s38
	buffer_store_dword v11, v12, s[0:3], 0 offen
	v_mul_f32_e32 v11, v10, v16
	v_mul_f32_e32 v13, v14, v22
	v_fma_f32 v13, v11, v2, -v13
	buffer_store_dword v13, v12, s[0:3], 0 offen offset:4
	v_mul_f32_e32 v13, v14, v16
	v_mul_f32_e32 v15, v13, v2
	v_fmac_f32_e32 v15, v10, v22
	buffer_store_dword v15, v12, s[0:3], 0 offen offset:8
	s_waitcnt vmcnt(5)
	buffer_store_dword v21, v12, s[0:3], 0 offen offset:12
	v_mul_f32_e32 v15, v20, v22
	buffer_store_dword v15, v12, s[0:3], 0 offen offset:16
	v_mul_f32_e32 v15, v14, v2
	v_mul_f32_e32 v2, v10, v2
	v_fmac_f32_e32 v15, v11, v22
	v_fma_f32 v2, v13, v22, -v2
	buffer_store_dword v15, v12, s[0:3], 0 offen offset:20
	buffer_store_dword v2, v12, s[0:3], 0 offen offset:24
	s_waitcnt vmcnt(8)
	buffer_store_dword v25, v12, s[0:3], 0 offen offset:28
	v_xor_b32_e32 v2, 0x80000000, v16
	buffer_store_dword v2, v12, s[0:3], 0 offen offset:32
	v_mul_f32_e32 v2, v10, v20
	buffer_store_dword v2, v12, s[0:3], 0 offen offset:36
	v_mul_f32_e32 v2, v14, v20
	buffer_store_dword v2, v12, s[0:3], 0 offen offset:40
	s_waitcnt vmcnt(11)
	buffer_store_dword v17, v12, s[0:3], 0 offen offset:44
	v_mov_b32_e32 v2, s37
	s_add_i32 s37, s37, 4
	s_add_u32 s20, s20, s36
	s_addc_u32 s21, s21, 0
	s_add_u32 s22, s22, s36
	s_addc_u32 s23, s23, 0
	;; [unrolled: 2-line block ×6, first 2 shown]
	s_add_i32 s38, s38, 48
	s_cmp_lg_u32 s37, 16
	buffer_store_dword v3, v2, s[0:3], 0 offen
	s_cbranch_scc0 .LBB2_26
.LBB2_2:                                ; =>This Inner Loop Header: Depth=1
	v_mov_b32_e32 v2, s21
	v_add_co_u32_e32 v10, vcc, s20, v0
	v_addc_co_u32_e32 v11, vcc, v2, v1, vcc
	global_load_dword v10, v[10:11], off
                                        ; implicit-def: $vgpr13
	s_waitcnt vmcnt(0)
	v_and_b32_e32 v11, 0x7fffffff, v10
	v_lshrrev_b32_e32 v2, 23, v11
	v_and_b32_e32 v12, 0x7fffff, v11
	v_cmp_nlt_f32_e64 s[12:13], |v10|, s39
	v_add_u32_e32 v17, 0xffffff88, v2
	v_or_b32_e32 v16, 0x800000, v12
                                        ; implicit-def: $vgpr12
	s_and_saveexec_b64 s[6:7], s[12:13]
	s_xor_b64 s[34:35], exec, s[6:7]
	s_cbranch_execz .LBB2_4
; %bb.3:                                ;   in Loop: Header=BB2_2 Depth=1
	v_mad_u64_u32 v[12:13], s[6:7], v16, s40, 0
	v_cmp_lt_u32_e32 vcc, 63, v17
	v_mov_b32_e32 v2, v13
	v_mad_u64_u32 v[13:14], s[6:7], v16, s41, v[2:3]
	v_mov_b32_e32 v2, v14
	v_mad_u64_u32 v[14:15], s[6:7], v16, s42, v[2:3]
	;; [unrolled: 2-line block ×3, first 2 shown]
	v_cndmask_b32_e32 v2, 0, v7, vcc
	v_add_u32_e32 v15, v2, v17
	v_mov_b32_e32 v2, v19
	v_mad_u64_u32 v[19:20], s[6:7], v16, s44, v[2:3]
	v_cmp_lt_u32_e64 s[6:7], 31, v15
	v_cndmask_b32_e64 v2, 0, v8, s[6:7]
	v_add_u32_e32 v15, v2, v15
	v_mov_b32_e32 v2, v20
	v_mad_u64_u32 v[20:21], s[8:9], v16, s45, v[2:3]
	v_cmp_lt_u32_e64 s[8:9], 31, v15
	v_cndmask_b32_e64 v2, 0, v8, s[8:9]
	v_add_u32_e32 v15, v2, v15
	v_mov_b32_e32 v2, v21
	v_mad_u64_u32 v[21:22], s[10:11], v16, s46, v[2:3]
	v_cndmask_b32_e32 v2, v19, v14, vcc
	v_cndmask_b32_e32 v23, v20, v18, vcc
	;; [unrolled: 1-line block ×4, first 2 shown]
	v_cndmask_b32_e64 v24, v23, v2, s[6:7]
	v_cndmask_b32_e64 v21, v19, v23, s[6:7]
	;; [unrolled: 1-line block ×3, first 2 shown]
	v_cndmask_b32_e32 v13, v18, v13, vcc
	v_cndmask_b32_e64 v19, v19, v21, s[8:9]
	v_cndmask_b32_e64 v20, v21, v24, s[8:9]
	v_sub_u32_e32 v21, 32, v15
	v_cndmask_b32_e64 v2, v2, v13, s[6:7]
	v_alignbit_b32 v22, v19, v20, v21
	v_cmp_eq_u32_e64 s[10:11], 0, v15
	v_cndmask_b32_e64 v18, v24, v2, s[8:9]
	v_cndmask_b32_e64 v15, v22, v19, s[10:11]
	v_alignbit_b32 v19, v20, v18, v21
	v_cndmask_b32_e32 v12, v14, v12, vcc
	v_cndmask_b32_e64 v19, v19, v20, s[10:11]
	v_bfe_u32 v23, v15, 29, 1
	v_cndmask_b32_e64 v12, v13, v12, s[6:7]
	v_alignbit_b32 v20, v15, v19, 30
	v_sub_u32_e32 v24, 0, v23
	v_cndmask_b32_e64 v2, v2, v12, s[8:9]
	v_xor_b32_e32 v20, v20, v24
	v_alignbit_b32 v12, v18, v2, v21
	v_cndmask_b32_e64 v12, v12, v18, s[10:11]
	v_ffbh_u32_e32 v14, v20
	v_alignbit_b32 v13, v19, v12, 30
	v_min_u32_e32 v14, 32, v14
	v_alignbit_b32 v2, v12, v2, 30
	v_xor_b32_e32 v13, v13, v24
	v_sub_u32_e32 v18, 31, v14
	v_xor_b32_e32 v2, v2, v24
	v_alignbit_b32 v19, v20, v13, v18
	v_alignbit_b32 v2, v13, v2, v18
	;; [unrolled: 1-line block ×3, first 2 shown]
	v_ffbh_u32_e32 v13, v12
	v_min_u32_e32 v13, 32, v13
	v_lshrrev_b32_e32 v22, 29, v15
	v_not_b32_e32 v18, v13
	v_alignbit_b32 v2, v12, v2, v18
	v_lshlrev_b32_e32 v12, 31, v22
	v_or_b32_e32 v18, 0x33000000, v12
	v_add_lshl_u32 v13, v13, v14, 23
	v_lshrrev_b32_e32 v2, 9, v2
	v_sub_u32_e32 v13, v18, v13
	v_or_b32_e32 v12, 0.5, v12
	v_lshlrev_b32_e32 v14, 23, v14
	v_or_b32_e32 v2, v13, v2
	v_lshrrev_b32_e32 v13, 9, v19
	v_sub_u32_e32 v12, v12, v14
	v_or_b32_e32 v12, v13, v12
	v_mul_f32_e32 v13, 0x3fc90fda, v12
	v_fma_f32 v14, v12, s47, -v13
	v_fmac_f32_e32 v14, 0x33a22168, v12
	v_fmac_f32_e32 v14, 0x3fc90fda, v2
	v_lshrrev_b32_e32 v2, 30, v15
	v_add_f32_e32 v13, v13, v14
	v_add_u32_e32 v12, v23, v2
.LBB2_4:                                ;   in Loop: Header=BB2_2 Depth=1
	s_or_saveexec_b64 s[6:7], s[34:35]
	v_mul_f32_e64 v2, |v10|, s48
	v_rndne_f32_e32 v2, v2
	s_xor_b64 exec, exec, s[6:7]
; %bb.5:                                ;   in Loop: Header=BB2_2 Depth=1
	v_cvt_i32_f32_e32 v12, v2
	v_fma_f32 v13, v2, s49, |v10|
	v_fmac_f32_e32 v13, 0xb3a22168, v2
	v_fmac_f32_e32 v13, 0xa7c234c4, v2
; %bb.6:                                ;   in Loop: Header=BB2_2 Depth=1
	s_or_b64 exec, exec, s[6:7]
                                        ; implicit-def: $vgpr14
                                        ; implicit-def: $vgpr15
	s_and_saveexec_b64 s[6:7], s[12:13]
	s_xor_b64 s[12:13], exec, s[6:7]
	s_cbranch_execz .LBB2_8
; %bb.7:                                ;   in Loop: Header=BB2_2 Depth=1
	v_mad_u64_u32 v[14:15], s[6:7], v16, s40, 0
	v_cmp_lt_u32_e32 vcc, 63, v17
	v_mov_b32_e32 v2, v15
	v_mad_u64_u32 v[18:19], s[6:7], v16, s41, v[2:3]
	v_mov_b32_e32 v2, v19
	v_mad_u64_u32 v[19:20], s[6:7], v16, s42, v[2:3]
	;; [unrolled: 2-line block ×3, first 2 shown]
	v_cndmask_b32_e32 v2, 0, v7, vcc
	v_add_u32_e32 v15, v2, v17
	v_mov_b32_e32 v2, v21
	v_mad_u64_u32 v[21:22], s[6:7], v16, s44, v[2:3]
	v_cmp_lt_u32_e64 s[6:7], 31, v15
	v_cndmask_b32_e64 v2, 0, v8, s[6:7]
	v_add_u32_e32 v15, v2, v15
	v_mov_b32_e32 v2, v22
	v_mad_u64_u32 v[22:23], s[8:9], v16, s45, v[2:3]
	v_cmp_lt_u32_e64 s[8:9], 31, v15
	v_cndmask_b32_e64 v2, 0, v8, s[8:9]
	v_add_u32_e32 v17, v2, v15
	v_mov_b32_e32 v2, v23
	v_mad_u64_u32 v[15:16], s[10:11], v16, s46, v[2:3]
	v_cndmask_b32_e32 v2, v21, v19, vcc
	v_cndmask_b32_e32 v23, v22, v20, vcc
	;; [unrolled: 1-line block ×4, first 2 shown]
	v_cndmask_b32_e64 v24, v23, v2, s[6:7]
	v_cndmask_b32_e64 v21, v15, v23, s[6:7]
	;; [unrolled: 1-line block ×5, first 2 shown]
	v_sub_u32_e32 v21, 32, v17
	v_alignbit_b32 v22, v15, v16, v21
	v_cmp_eq_u32_e64 s[10:11], 0, v17
	v_cndmask_b32_e64 v17, v22, v15, s[10:11]
	v_cndmask_b32_e32 v15, v20, v18, vcc
	v_cndmask_b32_e64 v2, v2, v15, s[6:7]
	v_cndmask_b32_e64 v18, v24, v2, s[8:9]
	v_cndmask_b32_e32 v14, v19, v14, vcc
	v_alignbit_b32 v20, v16, v18, v21
	v_cndmask_b32_e64 v14, v15, v14, s[6:7]
	v_cndmask_b32_e64 v16, v20, v16, s[10:11]
	v_bfe_u32 v23, v17, 29, 1
	v_cndmask_b32_e64 v2, v2, v14, s[8:9]
	v_alignbit_b32 v20, v17, v16, 30
	v_sub_u32_e32 v24, 0, v23
	v_alignbit_b32 v14, v18, v2, v21
	v_xor_b32_e32 v20, v20, v24
	v_cndmask_b32_e64 v14, v14, v18, s[10:11]
	v_alignbit_b32 v15, v16, v14, 30
	v_ffbh_u32_e32 v16, v20
	v_min_u32_e32 v16, 32, v16
	v_alignbit_b32 v2, v14, v2, 30
	v_xor_b32_e32 v15, v15, v24
	v_sub_u32_e32 v18, 31, v16
	v_xor_b32_e32 v2, v2, v24
	v_alignbit_b32 v19, v20, v15, v18
	v_alignbit_b32 v2, v15, v2, v18
	;; [unrolled: 1-line block ×3, first 2 shown]
	v_ffbh_u32_e32 v15, v14
	v_min_u32_e32 v15, 32, v15
	v_lshrrev_b32_e32 v22, 29, v17
	v_not_b32_e32 v18, v15
	v_alignbit_b32 v2, v14, v2, v18
	v_lshlrev_b32_e32 v14, 31, v22
	v_or_b32_e32 v18, 0x33000000, v14
	v_add_lshl_u32 v15, v15, v16, 23
	v_lshrrev_b32_e32 v2, 9, v2
	v_sub_u32_e32 v15, v18, v15
	v_or_b32_e32 v14, 0.5, v14
	v_lshlrev_b32_e32 v16, 23, v16
	v_or_b32_e32 v2, v15, v2
	v_lshrrev_b32_e32 v15, 9, v19
	v_sub_u32_e32 v14, v14, v16
	v_or_b32_e32 v14, v15, v14
	v_mul_f32_e32 v15, 0x3fc90fda, v14
	v_fma_f32 v16, v14, s47, -v15
	v_fmac_f32_e32 v16, 0x33a22168, v14
	v_fmac_f32_e32 v16, 0x3fc90fda, v2
	v_lshrrev_b32_e32 v2, 30, v17
	v_add_f32_e32 v15, v15, v16
	v_add_u32_e32 v14, v23, v2
                                        ; implicit-def: $vgpr2
	s_andn2_saveexec_b64 s[6:7], s[12:13]
	s_cbranch_execnz .LBB2_9
	s_branch .LBB2_10
.LBB2_8:                                ;   in Loop: Header=BB2_2 Depth=1
	s_andn2_saveexec_b64 s[6:7], s[12:13]
.LBB2_9:                                ;   in Loop: Header=BB2_2 Depth=1
	v_cvt_i32_f32_e32 v14, v2
	v_fma_f32 v15, v2, s49, |v10|
	v_fmac_f32_e32 v15, 0xb3a22168, v2
	v_fmac_f32_e32 v15, 0xa7c234c4, v2
.LBB2_10:                               ;   in Loop: Header=BB2_2 Depth=1
	s_or_b64 exec, exec, s[6:7]
	v_mov_b32_e32 v2, s23
	v_add_co_u32_e32 v16, vcc, s22, v0
	v_addc_co_u32_e32 v17, vcc, v2, v1, vcc
	global_load_dword v16, v[16:17], off
                                        ; implicit-def: $vgpr19
	s_waitcnt vmcnt(0)
	v_and_b32_e32 v17, 0x7fffffff, v16
	v_lshrrev_b32_e32 v2, 23, v17
	v_and_b32_e32 v18, 0x7fffff, v17
	v_cmp_nlt_f32_e64 s[12:13], |v16|, s39
	v_add_u32_e32 v23, 0xffffff88, v2
	v_or_b32_e32 v22, 0x800000, v18
                                        ; implicit-def: $vgpr18
	s_and_saveexec_b64 s[6:7], s[12:13]
	s_xor_b64 s[34:35], exec, s[6:7]
	s_cbranch_execz .LBB2_12
; %bb.11:                               ;   in Loop: Header=BB2_2 Depth=1
	v_mad_u64_u32 v[18:19], s[6:7], v22, s40, 0
	v_cmp_lt_u32_e32 vcc, 63, v23
	v_mov_b32_e32 v2, v19
	v_mad_u64_u32 v[19:20], s[6:7], v22, s41, v[2:3]
	v_mov_b32_e32 v2, v20
	v_mad_u64_u32 v[20:21], s[6:7], v22, s42, v[2:3]
	;; [unrolled: 2-line block ×3, first 2 shown]
	v_cndmask_b32_e32 v2, 0, v7, vcc
	v_add_u32_e32 v21, v2, v23
	v_mov_b32_e32 v2, v25
	v_mad_u64_u32 v[25:26], s[6:7], v22, s44, v[2:3]
	v_cmp_lt_u32_e64 s[6:7], 31, v21
	v_cndmask_b32_e64 v2, 0, v8, s[6:7]
	v_add_u32_e32 v21, v2, v21
	v_mov_b32_e32 v2, v26
	v_mad_u64_u32 v[26:27], s[8:9], v22, s45, v[2:3]
	v_cmp_lt_u32_e64 s[8:9], 31, v21
	v_cndmask_b32_e64 v2, 0, v8, s[8:9]
	v_add_u32_e32 v21, v2, v21
	v_mov_b32_e32 v2, v27
	v_mad_u64_u32 v[27:28], s[10:11], v22, s46, v[2:3]
	v_cndmask_b32_e32 v2, v25, v20, vcc
	v_cndmask_b32_e32 v29, v26, v24, vcc
	;; [unrolled: 1-line block ×4, first 2 shown]
	v_cndmask_b32_e64 v30, v29, v2, s[6:7]
	v_cndmask_b32_e64 v27, v25, v29, s[6:7]
	;; [unrolled: 1-line block ×3, first 2 shown]
	v_cndmask_b32_e32 v19, v24, v19, vcc
	v_cndmask_b32_e64 v25, v25, v27, s[8:9]
	v_cndmask_b32_e64 v26, v27, v30, s[8:9]
	v_sub_u32_e32 v27, 32, v21
	v_cndmask_b32_e64 v2, v2, v19, s[6:7]
	v_alignbit_b32 v28, v25, v26, v27
	v_cmp_eq_u32_e64 s[10:11], 0, v21
	v_cndmask_b32_e64 v24, v30, v2, s[8:9]
	v_cndmask_b32_e64 v21, v28, v25, s[10:11]
	v_alignbit_b32 v25, v26, v24, v27
	v_cndmask_b32_e32 v18, v20, v18, vcc
	v_cndmask_b32_e64 v25, v25, v26, s[10:11]
	v_bfe_u32 v29, v21, 29, 1
	v_cndmask_b32_e64 v18, v19, v18, s[6:7]
	v_alignbit_b32 v26, v21, v25, 30
	v_sub_u32_e32 v30, 0, v29
	v_cndmask_b32_e64 v2, v2, v18, s[8:9]
	v_xor_b32_e32 v26, v26, v30
	v_alignbit_b32 v18, v24, v2, v27
	v_cndmask_b32_e64 v18, v18, v24, s[10:11]
	v_ffbh_u32_e32 v20, v26
	v_alignbit_b32 v19, v25, v18, 30
	v_min_u32_e32 v20, 32, v20
	v_alignbit_b32 v2, v18, v2, 30
	v_xor_b32_e32 v19, v19, v30
	v_sub_u32_e32 v24, 31, v20
	v_xor_b32_e32 v2, v2, v30
	v_alignbit_b32 v25, v26, v19, v24
	v_alignbit_b32 v2, v19, v2, v24
	;; [unrolled: 1-line block ×3, first 2 shown]
	v_ffbh_u32_e32 v19, v18
	v_min_u32_e32 v19, 32, v19
	v_lshrrev_b32_e32 v28, 29, v21
	v_not_b32_e32 v24, v19
	v_alignbit_b32 v2, v18, v2, v24
	v_lshlrev_b32_e32 v18, 31, v28
	v_or_b32_e32 v24, 0x33000000, v18
	v_add_lshl_u32 v19, v19, v20, 23
	v_lshrrev_b32_e32 v2, 9, v2
	v_sub_u32_e32 v19, v24, v19
	v_or_b32_e32 v18, 0.5, v18
	v_lshlrev_b32_e32 v20, 23, v20
	v_or_b32_e32 v2, v19, v2
	v_lshrrev_b32_e32 v19, 9, v25
	v_sub_u32_e32 v18, v18, v20
	v_or_b32_e32 v18, v19, v18
	v_mul_f32_e32 v19, 0x3fc90fda, v18
	v_fma_f32 v20, v18, s47, -v19
	v_fmac_f32_e32 v20, 0x33a22168, v18
	v_fmac_f32_e32 v20, 0x3fc90fda, v2
	v_lshrrev_b32_e32 v2, 30, v21
	v_add_f32_e32 v19, v19, v20
	v_add_u32_e32 v18, v29, v2
.LBB2_12:                               ;   in Loop: Header=BB2_2 Depth=1
	s_or_saveexec_b64 s[6:7], s[34:35]
	v_mul_f32_e64 v2, |v16|, s48
	v_rndne_f32_e32 v2, v2
	s_xor_b64 exec, exec, s[6:7]
; %bb.13:                               ;   in Loop: Header=BB2_2 Depth=1
	v_cvt_i32_f32_e32 v18, v2
	v_fma_f32 v19, v2, s49, |v16|
	v_fmac_f32_e32 v19, 0xb3a22168, v2
	v_fmac_f32_e32 v19, 0xa7c234c4, v2
; %bb.14:                               ;   in Loop: Header=BB2_2 Depth=1
	s_or_b64 exec, exec, s[6:7]
                                        ; implicit-def: $vgpr20
                                        ; implicit-def: $vgpr21
	s_and_saveexec_b64 s[6:7], s[12:13]
	s_xor_b64 s[12:13], exec, s[6:7]
	s_cbranch_execz .LBB2_16
; %bb.15:                               ;   in Loop: Header=BB2_2 Depth=1
	v_mad_u64_u32 v[20:21], s[6:7], v22, s40, 0
	v_cmp_lt_u32_e32 vcc, 63, v23
	v_mov_b32_e32 v2, v21
	v_mad_u64_u32 v[24:25], s[6:7], v22, s41, v[2:3]
	v_mov_b32_e32 v2, v25
	v_mad_u64_u32 v[25:26], s[6:7], v22, s42, v[2:3]
	;; [unrolled: 2-line block ×3, first 2 shown]
	v_cndmask_b32_e32 v2, 0, v7, vcc
	v_add_u32_e32 v21, v2, v23
	v_mov_b32_e32 v2, v27
	v_mad_u64_u32 v[27:28], s[6:7], v22, s44, v[2:3]
	v_cmp_lt_u32_e64 s[6:7], 31, v21
	v_cndmask_b32_e64 v2, 0, v8, s[6:7]
	v_add_u32_e32 v21, v2, v21
	v_mov_b32_e32 v2, v28
	v_mad_u64_u32 v[28:29], s[8:9], v22, s45, v[2:3]
	v_cmp_lt_u32_e64 s[8:9], 31, v21
	v_cndmask_b32_e64 v2, 0, v8, s[8:9]
	v_add_u32_e32 v23, v2, v21
	v_mov_b32_e32 v2, v29
	v_mad_u64_u32 v[21:22], s[10:11], v22, s46, v[2:3]
	v_cndmask_b32_e32 v2, v27, v25, vcc
	v_cndmask_b32_e32 v29, v28, v26, vcc
	;; [unrolled: 1-line block ×4, first 2 shown]
	v_cndmask_b32_e64 v30, v29, v2, s[6:7]
	v_cndmask_b32_e64 v27, v21, v29, s[6:7]
	;; [unrolled: 1-line block ×5, first 2 shown]
	v_sub_u32_e32 v27, 32, v23
	v_alignbit_b32 v28, v21, v22, v27
	v_cmp_eq_u32_e64 s[10:11], 0, v23
	v_cndmask_b32_e64 v23, v28, v21, s[10:11]
	v_cndmask_b32_e32 v21, v26, v24, vcc
	v_cndmask_b32_e64 v2, v2, v21, s[6:7]
	v_cndmask_b32_e64 v24, v30, v2, s[8:9]
	v_cndmask_b32_e32 v20, v25, v20, vcc
	v_alignbit_b32 v26, v22, v24, v27
	v_cndmask_b32_e64 v20, v21, v20, s[6:7]
	v_cndmask_b32_e64 v22, v26, v22, s[10:11]
	v_bfe_u32 v29, v23, 29, 1
	v_cndmask_b32_e64 v2, v2, v20, s[8:9]
	v_alignbit_b32 v26, v23, v22, 30
	v_sub_u32_e32 v30, 0, v29
	v_alignbit_b32 v20, v24, v2, v27
	v_xor_b32_e32 v26, v26, v30
	v_cndmask_b32_e64 v20, v20, v24, s[10:11]
	v_alignbit_b32 v21, v22, v20, 30
	v_ffbh_u32_e32 v22, v26
	v_min_u32_e32 v22, 32, v22
	v_alignbit_b32 v2, v20, v2, 30
	v_xor_b32_e32 v21, v21, v30
	v_sub_u32_e32 v24, 31, v22
	v_xor_b32_e32 v2, v2, v30
	v_alignbit_b32 v25, v26, v21, v24
	v_alignbit_b32 v2, v21, v2, v24
	;; [unrolled: 1-line block ×3, first 2 shown]
	v_ffbh_u32_e32 v21, v20
	v_min_u32_e32 v21, 32, v21
	v_lshrrev_b32_e32 v28, 29, v23
	v_not_b32_e32 v24, v21
	v_alignbit_b32 v2, v20, v2, v24
	v_lshlrev_b32_e32 v20, 31, v28
	v_or_b32_e32 v24, 0x33000000, v20
	v_add_lshl_u32 v21, v21, v22, 23
	v_lshrrev_b32_e32 v2, 9, v2
	v_sub_u32_e32 v21, v24, v21
	v_or_b32_e32 v20, 0.5, v20
	v_lshlrev_b32_e32 v22, 23, v22
	v_or_b32_e32 v2, v21, v2
	v_lshrrev_b32_e32 v21, 9, v25
	v_sub_u32_e32 v20, v20, v22
	v_or_b32_e32 v20, v21, v20
	v_mul_f32_e32 v21, 0x3fc90fda, v20
	v_fma_f32 v22, v20, s47, -v21
	v_fmac_f32_e32 v22, 0x33a22168, v20
	v_fmac_f32_e32 v22, 0x3fc90fda, v2
	v_lshrrev_b32_e32 v2, 30, v23
	v_add_f32_e32 v21, v21, v22
	v_add_u32_e32 v20, v29, v2
                                        ; implicit-def: $vgpr2
	s_andn2_saveexec_b64 s[6:7], s[12:13]
	s_cbranch_execnz .LBB2_17
	s_branch .LBB2_18
.LBB2_16:                               ;   in Loop: Header=BB2_2 Depth=1
	s_andn2_saveexec_b64 s[6:7], s[12:13]
.LBB2_17:                               ;   in Loop: Header=BB2_2 Depth=1
	v_cvt_i32_f32_e32 v20, v2
	v_fma_f32 v21, v2, s49, |v16|
	v_fmac_f32_e32 v21, 0xb3a22168, v2
	v_fmac_f32_e32 v21, 0xa7c234c4, v2
.LBB2_18:                               ;   in Loop: Header=BB2_2 Depth=1
	s_or_b64 exec, exec, s[6:7]
	v_mov_b32_e32 v2, s25
	v_add_co_u32_e32 v22, vcc, s24, v0
	v_addc_co_u32_e32 v23, vcc, v2, v1, vcc
	global_load_dword v22, v[22:23], off
                                        ; implicit-def: $vgpr25
                                        ; implicit-def: $vgpr27
	s_waitcnt vmcnt(0)
	v_and_b32_e32 v23, 0x7fffffff, v22
	v_lshrrev_b32_e32 v2, 23, v23
	v_and_b32_e32 v24, 0x7fffff, v23
	v_cmp_nlt_f32_e64 s[12:13], |v22|, s39
	v_add_u32_e32 v28, 0xffffff88, v2
	v_or_b32_e32 v26, 0x800000, v24
	s_and_saveexec_b64 s[6:7], s[12:13]
	s_xor_b64 s[34:35], exec, s[6:7]
	s_cbranch_execz .LBB2_20
; %bb.19:                               ;   in Loop: Header=BB2_2 Depth=1
	v_mad_u64_u32 v[24:25], s[6:7], v26, s40, 0
	v_cmp_lt_u32_e32 vcc, 63, v28
	v_mov_b32_e32 v2, v25
	v_mad_u64_u32 v[29:30], s[6:7], v26, s41, v[2:3]
	v_mov_b32_e32 v2, v30
	v_mad_u64_u32 v[30:31], s[6:7], v26, s42, v[2:3]
	;; [unrolled: 2-line block ×3, first 2 shown]
	v_cndmask_b32_e32 v2, 0, v7, vcc
	v_add_u32_e32 v25, v2, v28
	v_mov_b32_e32 v2, v32
	v_mad_u64_u32 v[32:33], s[6:7], v26, s44, v[2:3]
	v_cmp_lt_u32_e64 s[6:7], 31, v25
	v_cndmask_b32_e64 v2, 0, v8, s[6:7]
	v_add_u32_e32 v25, v2, v25
	v_mov_b32_e32 v2, v33
	v_mad_u64_u32 v[33:34], s[8:9], v26, s45, v[2:3]
	v_cmp_lt_u32_e64 s[8:9], 31, v25
	v_cndmask_b32_e64 v2, 0, v8, s[8:9]
	v_add_u32_e32 v25, v2, v25
	v_mov_b32_e32 v2, v34
	v_mad_u64_u32 v[34:35], s[10:11], v26, s46, v[2:3]
	v_cndmask_b32_e32 v2, v32, v30, vcc
	v_cndmask_b32_e32 v27, v33, v31, vcc
	;; [unrolled: 1-line block ×4, first 2 shown]
	v_cndmask_b32_e64 v36, v27, v2, s[6:7]
	v_cndmask_b32_e64 v27, v32, v27, s[6:7]
	v_cndmask_b32_e64 v32, v33, v32, s[6:7]
	v_cndmask_b32_e32 v29, v31, v29, vcc
	v_cndmask_b32_e64 v32, v32, v27, s[8:9]
	v_cndmask_b32_e64 v27, v27, v36, s[8:9]
	v_sub_u32_e32 v33, 32, v25
	v_cndmask_b32_e64 v2, v2, v29, s[6:7]
	v_alignbit_b32 v34, v32, v27, v33
	v_cmp_eq_u32_e64 s[10:11], 0, v25
	v_cndmask_b32_e64 v31, v36, v2, s[8:9]
	v_cndmask_b32_e64 v25, v34, v32, s[10:11]
	v_alignbit_b32 v32, v27, v31, v33
	v_cndmask_b32_e32 v24, v30, v24, vcc
	v_cndmask_b32_e64 v27, v32, v27, s[10:11]
	v_bfe_u32 v35, v25, 29, 1
	v_cndmask_b32_e64 v24, v29, v24, s[6:7]
	v_alignbit_b32 v32, v25, v27, 30
	v_sub_u32_e32 v36, 0, v35
	v_cndmask_b32_e64 v2, v2, v24, s[8:9]
	v_xor_b32_e32 v32, v32, v36
	v_alignbit_b32 v24, v31, v2, v33
	v_cndmask_b32_e64 v24, v24, v31, s[10:11]
	v_ffbh_u32_e32 v29, v32
	v_alignbit_b32 v27, v27, v24, 30
	v_min_u32_e32 v29, 32, v29
	v_alignbit_b32 v2, v24, v2, 30
	v_xor_b32_e32 v27, v27, v36
	v_sub_u32_e32 v30, 31, v29
	v_xor_b32_e32 v2, v2, v36
	v_alignbit_b32 v31, v32, v27, v30
	v_alignbit_b32 v2, v27, v2, v30
	;; [unrolled: 1-line block ×3, first 2 shown]
	v_ffbh_u32_e32 v27, v24
	v_min_u32_e32 v27, 32, v27
	v_lshrrev_b32_e32 v34, 29, v25
	v_not_b32_e32 v30, v27
	v_alignbit_b32 v2, v24, v2, v30
	v_lshlrev_b32_e32 v24, 31, v34
	v_or_b32_e32 v30, 0x33000000, v24
	v_add_lshl_u32 v27, v27, v29, 23
	v_lshrrev_b32_e32 v2, 9, v2
	v_sub_u32_e32 v27, v30, v27
	v_or_b32_e32 v24, 0.5, v24
	v_lshlrev_b32_e32 v29, 23, v29
	v_or_b32_e32 v2, v27, v2
	v_lshrrev_b32_e32 v27, 9, v31
	v_sub_u32_e32 v24, v24, v29
	v_or_b32_e32 v24, v27, v24
	v_mul_f32_e32 v27, 0x3fc90fda, v24
	v_fma_f32 v29, v24, s47, -v27
	v_fmac_f32_e32 v29, 0x33a22168, v24
	v_fmac_f32_e32 v29, 0x3fc90fda, v2
	v_lshrrev_b32_e32 v2, 30, v25
	v_add_f32_e32 v27, v27, v29
	v_add_u32_e32 v25, v35, v2
.LBB2_20:                               ;   in Loop: Header=BB2_2 Depth=1
	s_or_saveexec_b64 s[6:7], s[34:35]
	v_mul_f32_e64 v2, |v22|, s48
	v_rndne_f32_e32 v29, v2
	s_xor_b64 exec, exec, s[6:7]
; %bb.21:                               ;   in Loop: Header=BB2_2 Depth=1
	v_cvt_i32_f32_e32 v25, v29
	v_fma_f32 v27, v29, s49, |v22|
	v_fmac_f32_e32 v27, 0xb3a22168, v29
	v_fmac_f32_e32 v27, 0xa7c234c4, v29
; %bb.22:                               ;   in Loop: Header=BB2_2 Depth=1
	s_or_b64 exec, exec, s[6:7]
                                        ; implicit-def: $vgpr2
                                        ; implicit-def: $vgpr24
	s_and_saveexec_b64 s[6:7], s[12:13]
	s_xor_b64 s[12:13], exec, s[6:7]
	s_cbranch_execz .LBB2_24
; %bb.23:                               ;   in Loop: Header=BB2_2 Depth=1
	v_mad_u64_u32 v[29:30], s[6:7], v26, s40, 0
	v_cmp_lt_u32_e32 vcc, 63, v28
	v_mov_b32_e32 v2, v30
	v_mad_u64_u32 v[30:31], s[6:7], v26, s41, v[2:3]
	v_mov_b32_e32 v2, v31
	v_mad_u64_u32 v[31:32], s[6:7], v26, s42, v[2:3]
	;; [unrolled: 2-line block ×3, first 2 shown]
	v_cndmask_b32_e32 v2, 0, v7, vcc
	v_add_u32_e32 v24, v2, v28
	v_mov_b32_e32 v2, v33
	v_mad_u64_u32 v[33:34], s[6:7], v26, s44, v[2:3]
	v_cmp_lt_u32_e64 s[6:7], 31, v24
	v_cndmask_b32_e64 v2, 0, v8, s[6:7]
	v_add_u32_e32 v24, v2, v24
	v_mov_b32_e32 v2, v34
	v_mad_u64_u32 v[34:35], s[8:9], v26, s45, v[2:3]
	v_cmp_lt_u32_e64 s[8:9], 31, v24
	v_cndmask_b32_e64 v2, 0, v8, s[8:9]
	v_add_u32_e32 v24, v2, v24
	v_mov_b32_e32 v2, v35
	v_mad_u64_u32 v[35:36], s[10:11], v26, s46, v[2:3]
	v_cndmask_b32_e32 v2, v33, v31, vcc
	v_cndmask_b32_e32 v26, v34, v32, vcc
	;; [unrolled: 1-line block ×4, first 2 shown]
	v_cndmask_b32_e64 v28, v26, v2, s[6:7]
	v_cndmask_b32_e64 v26, v33, v26, s[6:7]
	;; [unrolled: 1-line block ×3, first 2 shown]
	v_sub_u32_e32 v34, 32, v24
	v_cmp_eq_u32_e64 s[10:11], 0, v24
	v_cndmask_b32_e32 v24, v32, v30, vcc
	v_cndmask_b32_e64 v33, v33, v26, s[8:9]
	v_cndmask_b32_e64 v26, v26, v28, s[8:9]
	;; [unrolled: 1-line block ×3, first 2 shown]
	v_alignbit_b32 v35, v33, v26, v34
	v_cndmask_b32_e64 v28, v28, v2, s[8:9]
	v_cndmask_b32_e64 v33, v35, v33, s[10:11]
	v_alignbit_b32 v30, v26, v28, v34
	v_cndmask_b32_e32 v29, v31, v29, vcc
	v_cndmask_b32_e64 v26, v30, v26, s[10:11]
	v_bfe_u32 v35, v33, 29, 1
	v_cndmask_b32_e64 v24, v24, v29, s[6:7]
	v_alignbit_b32 v30, v33, v26, 30
	v_sub_u32_e32 v36, 0, v35
	v_cndmask_b32_e64 v2, v2, v24, s[8:9]
	v_xor_b32_e32 v30, v30, v36
	v_alignbit_b32 v24, v28, v2, v34
	v_cndmask_b32_e64 v24, v24, v28, s[10:11]
	v_ffbh_u32_e32 v28, v30
	v_alignbit_b32 v26, v26, v24, 30
	v_min_u32_e32 v28, 32, v28
	v_alignbit_b32 v2, v24, v2, 30
	v_xor_b32_e32 v26, v26, v36
	v_sub_u32_e32 v29, 31, v28
	v_xor_b32_e32 v2, v2, v36
	v_alignbit_b32 v30, v30, v26, v29
	v_alignbit_b32 v2, v26, v2, v29
	;; [unrolled: 1-line block ×3, first 2 shown]
	v_ffbh_u32_e32 v26, v24
	v_min_u32_e32 v26, 32, v26
	v_lshrrev_b32_e32 v32, 29, v33
	v_not_b32_e32 v29, v26
	v_alignbit_b32 v2, v24, v2, v29
	v_lshlrev_b32_e32 v24, 31, v32
	v_or_b32_e32 v29, 0x33000000, v24
	v_add_lshl_u32 v26, v26, v28, 23
	v_lshrrev_b32_e32 v2, 9, v2
	v_sub_u32_e32 v26, v29, v26
	v_or_b32_e32 v24, 0.5, v24
	v_lshlrev_b32_e32 v28, 23, v28
	v_or_b32_e32 v2, v26, v2
	v_lshrrev_b32_e32 v26, 9, v30
	v_sub_u32_e32 v24, v24, v28
	v_or_b32_e32 v24, v26, v24
	v_mul_f32_e32 v26, 0x3fc90fda, v24
	v_fma_f32 v28, v24, s47, -v26
	v_fmac_f32_e32 v28, 0x33a22168, v24
	v_fmac_f32_e32 v28, 0x3fc90fda, v2
	v_lshrrev_b32_e32 v2, 30, v33
	v_add_f32_e32 v24, v26, v28
	v_add_u32_e32 v2, v35, v2
                                        ; implicit-def: $vgpr29
	s_andn2_saveexec_b64 s[6:7], s[12:13]
	s_cbranch_execz .LBB2_1
	s_branch .LBB2_25
.LBB2_24:                               ;   in Loop: Header=BB2_2 Depth=1
	s_andn2_saveexec_b64 s[6:7], s[12:13]
	s_cbranch_execz .LBB2_1
.LBB2_25:                               ;   in Loop: Header=BB2_2 Depth=1
	v_cvt_i32_f32_e32 v2, v29
	v_fma_f32 v24, v29, s49, |v22|
	v_fmac_f32_e32 v24, 0xb3a22168, v29
	v_fmac_f32_e32 v24, 0xa7c234c4, v29
	s_branch .LBB2_1
.LBB2_26:
	buffer_load_dword v0, off, s[0:3], 0 offset:32
	s_mov_b32 s27, 0
	s_movk_i32 s36, 0x46
	s_movk_i32 s37, 0x45
	s_mov_b32 s38, 0xf800000
	s_mov_b32 s26, s27
	v_mov_b32_e32 v61, 0
	v_mov_b32_e32 v62, 0x260
	v_mov_b32_e32 v63, 0x42980000
	s_waitcnt vmcnt(0)
	buffer_store_dword v0, off, s[0:3], 0 offset:208 ; 4-byte Folded Spill
	buffer_load_dword v0, off, s[0:3], 0 offset:36
	s_waitcnt vmcnt(0)
	buffer_store_dword v0, off, s[0:3], 0 offset:212 ; 4-byte Folded Spill
	buffer_load_dword v0, off, s[0:3], 0 offset:40
	;; [unrolled: 3-line block ×24, first 2 shown]
	buffer_load_dword v34, off, s[0:3], 0 offset:128
	buffer_load_dword v35, off, s[0:3], 0 offset:132
	;; [unrolled: 1-line block ×26, first 2 shown]
	buffer_load_dword v52, off, s[0:3], 0
	s_load_dwordx2 s[6:7], s[4:5], 0x0
	s_load_dwordx4 s[20:23], s[4:5], 0x48
	s_waitcnt lgkmcnt(0)
	s_max_i32 s34, s7, 1
	s_max_i32 s35, s6, 1
	s_add_u32 s24, s16, 8
	s_addc_u32 s25, s17, 0
.LBB2_27:                               ; =>This Loop Header: Depth=1
                                        ;     Child Loop BB2_28 Depth 2
	s_lshl_b64 s[4:5], s[26:27], 4
	s_add_u32 s4, s18, s4
	s_addc_u32 s5, s19, s5
	global_load_dwordx4 v[0:3], v61, s[4:5]
	buffer_load_dword v5, off, s[0:3], 0 offset:208 ; 4-byte Folded Reload
	buffer_load_dword v6, off, s[0:3], 0 offset:220 ; 4-byte Folded Reload
	s_mov_b32 s39, s34
	s_mov_b64 s[28:29], s[24:25]
	s_waitcnt vmcnt(2)
	v_fma_f32 v8, v0, v57, v60
	s_waitcnt vmcnt(0)
	v_fma_f32 v9, v0, v5, v6
	buffer_load_dword v5, off, s[0:3], 0 offset:224 ; 4-byte Folded Reload
	buffer_load_dword v6, off, s[0:3], 0 offset:236 ; 4-byte Folded Reload
	v_fma_f32 v15, v0, v34, v33
	v_fma_f32 v16, v0, v37, v36
	;; [unrolled: 1-line block ×5, first 2 shown]
	v_ashrrev_i32_e32 v4, 31, v3
	v_fmac_f32_e32 v8, v1, v58
	v_fmac_f32_e32 v15, v1, v35
	;; [unrolled: 1-line block ×12, first 2 shown]
	s_waitcnt vmcnt(0)
	v_fma_f32 v10, v0, v5, v6
	buffer_load_dword v5, off, s[0:3], 0 offset:212 ; 4-byte Folded Reload
	s_waitcnt vmcnt(0)
	v_fmac_f32_e32 v9, v1, v5
	buffer_load_dword v5, off, s[0:3], 0 offset:228 ; 4-byte Folded Reload
	s_waitcnt vmcnt(0)
	v_fmac_f32_e32 v10, v1, v5
	buffer_load_dword v5, off, s[0:3], 0 offset:240 ; 4-byte Folded Reload
	buffer_load_dword v6, off, s[0:3], 0 offset:252 ; 4-byte Folded Reload
	s_waitcnt vmcnt(0)
	v_fma_f32 v11, v0, v5, v6
	buffer_load_dword v5, off, s[0:3], 0 offset:244 ; 4-byte Folded Reload
	s_waitcnt vmcnt(0)
	v_fmac_f32_e32 v11, v1, v5
	buffer_load_dword v5, off, s[0:3], 0 offset:256 ; 4-byte Folded Reload
	buffer_load_dword v6, off, s[0:3], 0 offset:260 ; 4-byte Folded Reload
	s_waitcnt vmcnt(0)
	v_fma_f32 v12, v0, v6, v5
	;; [unrolled: 7-line block ×4, first 2 shown]
	buffer_load_dword v5, off, s[0:3], 0 offset:292 ; 4-byte Folded Reload
	buffer_load_dword v0, off, s[0:3], 0 offset:216 ; 4-byte Folded Reload
	s_waitcnt vmcnt(1)
	v_fmac_f32_e32 v14, v1, v5
	s_waitcnt vmcnt(0)
	v_fmac_f32_e32 v9, v2, v0
	buffer_load_dword v0, off, s[0:3], 0 offset:232 ; 4-byte Folded Reload
	s_waitcnt vmcnt(0)
	v_fmac_f32_e32 v10, v2, v0
	buffer_load_dword v0, off, s[0:3], 0 offset:248 ; 4-byte Folded Reload
	;; [unrolled: 3-line block ×5, first 2 shown]
	s_waitcnt vmcnt(0)
	v_fmac_f32_e32 v14, v2, v0
	v_lshlrev_b64 v[0:1], 4, v[3:4]
	v_mov_b32_e32 v2, s23
	v_add_co_u32_e32 v0, vcc, s22, v0
	v_addc_co_u32_e32 v1, vcc, v2, v1, vcc
	global_load_dwordx4 v[0:3], v[0:1], off
	v_mov_b32_e32 v4, 0xff7fffff
	s_waitcnt vmcnt(0)
	v_cmp_eq_u32_e64 s[8:9], s36, v0
	v_cmp_eq_u32_e64 s[10:11], s37, v0
	v_cmp_gt_f32_e64 s[12:13], 0, v2
	v_mov_b32_e32 v0, 0x40b00000
	v_cmp_lt_f32_e64 s[6:7], 0, v2
	v_cndmask_b32_e64 v0, 1.0, v0, s[12:13]
	v_cndmask_b32_e64 v20, v4, 1.0, s[12:13]
.LBB2_28:                               ;   Parent Loop BB2_27 Depth=1
                                        ; =>  This Inner Loop Header: Depth=2
	global_load_dwordx4 v[4:7], v61, s[28:29] offset:-8
	s_waitcnt vmcnt(0)
	v_ashrrev_i32_e32 v22, 31, v7
	v_mov_b32_e32 v21, v7
	v_lshlrev_b64 v[21:22], 4, v[21:22]
	v_mov_b32_e32 v7, s23
	v_add_co_u32_e32 v21, vcc, s22, v21
	v_addc_co_u32_e32 v22, vcc, v7, v22, vcc
	global_load_dwordx4 v[28:31], v[21:22], off
	s_waitcnt vmcnt(0)
	v_add_f32_e32 v27, v1, v29
	v_div_scale_f32 v7, s[4:5], v27, v27, 1.0
	v_cmp_lt_f32_e64 s[16:17], 0, v30
	s_and_b64 s[16:17], s[16:17], s[12:13]
	v_cmp_neq_f32_e64 s[4:5], 0, v30
	v_rcp_f32_e32 v21, v7
	v_fma_f32 v22, -v7, v21, 1.0
	v_fmac_f32_e32 v21, v22, v21
	v_div_scale_f32 v22, vcc, 1.0, v27, 1.0
	v_mul_f32_e32 v23, v22, v21
	v_fma_f32 v24, -v7, v23, v22
	v_fmac_f32_e32 v23, v24, v21
	v_fma_f32 v7, -v7, v23, v22
	v_div_fmas_f32 v7, v7, v21, v23
	v_cmp_eq_u32_e32 vcc, s36, v28
	s_and_b64 vcc, vcc, s[8:9]
	v_cndmask_b32_e64 v22, 2.0, 4.0, vcc
	v_div_fixup_f32 v23, v7, v27, 1.0
	v_mov_b32_e32 v7, 0x3e800000
	v_cndmask_b32_e32 v24, 0.5, v7, vcc
	v_cmp_eq_u32_e32 vcc, s37, v28
	s_or_b64 s[30:31], vcc, s[10:11]
	v_cmp_gt_f32_e32 vcc, 0, v30
	v_cndmask_b32_e32 v21, v20, v0, vcc
	v_cndmask_b32_e64 v28, v2, -v2, s[16:17]
	v_div_scale_f32 v25, s[16:17], v21, v21, 1.0
	s_and_b64 s[40:41], vcc, s[6:7]
	v_cndmask_b32_e64 v7, v30, -v30, s[40:41]
	v_add_f32_e32 v7, v7, v28
	v_sub_f32_e32 v28, v8, v4
	v_rcp_f32_e32 v26, v25
	v_fma_f32 v29, -v25, v26, 1.0
	v_fmac_f32_e32 v26, v29, v26
	v_div_scale_f32 v29, vcc, 1.0, v21, 1.0
	v_mul_f32_e32 v30, v29, v26
	v_fma_f32 v32, -v25, v30, v29
	v_fmac_f32_e32 v30, v32, v26
	v_fma_f32 v25, -v25, v30, v29
	v_sub_f32_e32 v29, v9, v5
	v_mul_f32_e32 v29, v29, v29
	v_div_fmas_f32 v25, v25, v26, v30
	v_sub_f32_e32 v30, v10, v6
	v_fmac_f32_e32 v29, v28, v28
	v_fmac_f32_e32 v29, v30, v30
	v_cmp_gt_f32_e32 vcc, s38, v29
	v_mul_f32_e32 v28, 0x4f800000, v29
	v_cndmask_b32_e32 v28, v29, v28, vcc
	v_sqrt_f32_e32 v29, v28
	v_mul_f32_e32 v26, v3, v31
	v_add_u32_e32 v30, -1, v29
	v_fma_f32 v31, -v30, v29, v28
	v_cmp_ge_f32_e64 s[16:17], 0, v31
	v_add_u32_e32 v31, 1, v29
	v_cndmask_b32_e64 v30, v29, v30, s[16:17]
	v_fma_f32 v29, -v31, v29, v28
	v_cmp_lt_f32_e64 s[16:17], 0, v29
	v_cndmask_b32_e64 v29, v30, v31, s[16:17]
	v_mul_f32_e32 v30, 0x37800000, v29
	v_cndmask_b32_e32 v29, v29, v30, vcc
	v_cmp_class_f32_e32 vcc, v28, v62
	v_cndmask_b32_e32 v28, v29, v28, vcc
	v_sub_f32_e32 v29, v28, v27
	v_cmp_gt_f32_e32 vcc, 0, v29
	v_fma_f32 v28, -v23, v28, 1.0
	v_cndmask_b32_e32 v30, 0, v63, vcc
	v_fmac_f32_e32 v52, v28, v30
	v_fma_f32 v28, -v24, v29, 1.0
	v_cmp_lt_f32_e64 s[16:17], v29, v22
	v_cndmask_b32_e64 v28, v28, 1.0, vcc
	v_cndmask_b32_e64 v30, 0, 1.0, s[16:17]
	v_mul_f32_e32 v28, v30, v28
	v_mul_f32_e32 v28, v26, v28
	v_cmp_lt_f32_e64 s[16:17], v29, v21
	v_div_fixup_f32 v25, v25, v21, 1.0
	v_cndmask_b32_e64 v28, v28, -|v28|, s[30:31]
	s_and_b64 s[16:17], s[4:5], s[16:17]
	v_fmac_f32_e32 v52, 0x42340000, v28
	v_fma_f32 v28, -v25, v29, 1.0
	v_cndmask_b32_e64 v29, 0, 1.0, s[16:17]
	v_mul_f32_e32 v29, v7, v29
	v_cndmask_b32_e64 v28, v28, 1.0, vcc
	v_fmac_f32_e32 v52, v28, v29
	v_sub_f32_e32 v29, v12, v5
	v_sub_f32_e32 v28, v11, v4
	v_mul_f32_e32 v29, v29, v29
	v_sub_f32_e32 v30, v13, v6
	v_fmac_f32_e32 v29, v28, v28
	v_fmac_f32_e32 v29, v30, v30
	v_cmp_gt_f32_e32 vcc, s38, v29
	v_mul_f32_e32 v28, 0x4f800000, v29
	v_cndmask_b32_e32 v28, v29, v28, vcc
	v_sqrt_f32_e32 v29, v28
	v_add_u32_e32 v30, -1, v29
	v_fma_f32 v31, -v30, v29, v28
	v_cmp_ge_f32_e64 s[16:17], 0, v31
	v_add_u32_e32 v31, 1, v29
	v_cndmask_b32_e64 v30, v29, v30, s[16:17]
	v_fma_f32 v29, -v31, v29, v28
	v_cmp_lt_f32_e64 s[16:17], 0, v29
	v_cndmask_b32_e64 v29, v30, v31, s[16:17]
	v_mul_f32_e32 v30, 0x37800000, v29
	v_cndmask_b32_e32 v29, v29, v30, vcc
	v_cmp_class_f32_e32 vcc, v28, v62
	v_cndmask_b32_e32 v28, v29, v28, vcc
	v_sub_f32_e32 v29, v28, v27
	v_cmp_gt_f32_e32 vcc, 0, v29
	v_fma_f32 v28, -v23, v28, 1.0
	v_cndmask_b32_e32 v30, 0, v63, vcc
	v_fmac_f32_e32 v43, v28, v30
	v_fma_f32 v28, -v24, v29, 1.0
	v_cmp_lt_f32_e64 s[16:17], v29, v22
	v_cndmask_b32_e64 v28, v28, 1.0, vcc
	v_cndmask_b32_e64 v30, 0, 1.0, s[16:17]
	v_mul_f32_e32 v28, v30, v28
	v_mul_f32_e32 v28, v26, v28
	v_cmp_lt_f32_e64 s[16:17], v29, v21
	v_cndmask_b32_e64 v28, v28, -|v28|, s[30:31]
	s_and_b64 s[16:17], s[4:5], s[16:17]
	v_fmac_f32_e32 v43, 0x42340000, v28
	v_fma_f32 v28, -v25, v29, 1.0
	v_cndmask_b32_e64 v29, 0, 1.0, s[16:17]
	v_mul_f32_e32 v29, v7, v29
	v_cndmask_b32_e64 v28, v28, 1.0, vcc
	v_fmac_f32_e32 v43, v28, v29
	v_sub_f32_e32 v29, v15, v5
	v_sub_f32_e32 v28, v14, v4
	v_mul_f32_e32 v29, v29, v29
	v_sub_f32_e32 v30, v16, v6
	v_fmac_f32_e32 v29, v28, v28
	v_fmac_f32_e32 v29, v30, v30
	v_cmp_gt_f32_e32 vcc, s38, v29
	v_mul_f32_e32 v28, 0x4f800000, v29
	v_cndmask_b32_e32 v28, v29, v28, vcc
	v_sqrt_f32_e32 v29, v28
	v_sub_f32_e32 v5, v18, v5
	v_sub_f32_e32 v4, v17, v4
	v_mul_f32_e32 v5, v5, v5
	v_add_u32_e32 v30, -1, v29
	v_fma_f32 v31, -v30, v29, v28
	v_cmp_ge_f32_e64 s[16:17], 0, v31
	v_add_u32_e32 v31, 1, v29
	v_cndmask_b32_e64 v30, v29, v30, s[16:17]
	v_fma_f32 v29, -v31, v29, v28
	v_cmp_lt_f32_e64 s[16:17], 0, v29
	v_cndmask_b32_e64 v29, v30, v31, s[16:17]
	v_mul_f32_e32 v30, 0x37800000, v29
	v_cndmask_b32_e32 v29, v29, v30, vcc
	v_cmp_class_f32_e32 vcc, v28, v62
	v_cndmask_b32_e32 v28, v29, v28, vcc
	v_sub_f32_e32 v29, v28, v27
	v_cmp_gt_f32_e32 vcc, 0, v29
	v_fma_f32 v28, -v23, v28, 1.0
	v_cndmask_b32_e32 v30, 0, v63, vcc
	v_fmac_f32_e32 v42, v28, v30
	v_fma_f32 v28, -v24, v29, 1.0
	v_cmp_lt_f32_e64 s[16:17], v29, v22
	v_cndmask_b32_e64 v28, v28, 1.0, vcc
	v_cndmask_b32_e64 v30, 0, 1.0, s[16:17]
	v_mul_f32_e32 v28, v30, v28
	v_mul_f32_e32 v28, v26, v28
	v_cndmask_b32_e64 v28, v28, -|v28|, s[30:31]
	v_sub_f32_e32 v6, v19, v6
	v_fmac_f32_e32 v5, v4, v4
	v_fmac_f32_e32 v42, 0x42340000, v28
	v_fma_f32 v28, -v25, v29, 1.0
	v_fmac_f32_e32 v5, v6, v6
	v_cndmask_b32_e64 v28, v28, 1.0, vcc
	v_cmp_gt_f32_e32 vcc, s38, v5
	v_mul_f32_e32 v4, 0x4f800000, v5
	v_cndmask_b32_e32 v4, v5, v4, vcc
	v_sqrt_f32_e32 v5, v4
	v_cmp_lt_f32_e64 s[16:17], v29, v21
	s_and_b64 s[16:17], s[4:5], s[16:17]
	v_cndmask_b32_e64 v29, 0, 1.0, s[16:17]
	v_mul_f32_e32 v29, v7, v29
	v_add_u32_e32 v6, -1, v5
	v_fmac_f32_e32 v42, v28, v29
	v_fma_f32 v28, -v6, v5, v4
	v_cmp_ge_f32_e64 s[16:17], 0, v28
	v_add_u32_e32 v28, 1, v5
	v_cndmask_b32_e64 v6, v5, v6, s[16:17]
	v_fma_f32 v5, -v28, v5, v4
	v_cmp_lt_f32_e64 s[16:17], 0, v5
	v_cndmask_b32_e64 v5, v6, v28, s[16:17]
	v_mul_f32_e32 v6, 0x37800000, v5
	v_cndmask_b32_e32 v5, v5, v6, vcc
	v_cmp_class_f32_e32 vcc, v4, v62
	v_cndmask_b32_e32 v4, v5, v4, vcc
	v_sub_f32_e32 v5, v4, v27
	v_cmp_gt_f32_e32 vcc, 0, v5
	v_fma_f32 v4, -v23, v4, 1.0
	v_cndmask_b32_e32 v6, 0, v63, vcc
	v_fmac_f32_e32 v41, v4, v6
	v_fma_f32 v4, -v24, v5, 1.0
	v_cmp_lt_f32_e64 s[16:17], v5, v22
	v_cndmask_b32_e64 v4, v4, 1.0, vcc
	v_cndmask_b32_e64 v6, 0, 1.0, s[16:17]
	v_mul_f32_e32 v4, v6, v4
	v_mul_f32_e32 v4, v26, v4
	v_cmp_lt_f32_e64 s[16:17], v5, v21
	v_cndmask_b32_e64 v4, v4, -|v4|, s[30:31]
	s_and_b64 s[4:5], s[4:5], s[16:17]
	v_fmac_f32_e32 v41, 0x42340000, v4
	v_fma_f32 v4, -v25, v5, 1.0
	v_cndmask_b32_e64 v5, 0, 1.0, s[4:5]
	s_add_u32 s28, s28, 16
	v_mul_f32_e32 v5, v7, v5
	v_cndmask_b32_e64 v4, v4, 1.0, vcc
	s_addc_u32 s29, s29, 0
	s_add_i32 s39, s39, -1
	v_fmac_f32_e32 v41, v4, v5
	s_cmp_lg_u32 s39, 0
	s_cbranch_scc1 .LBB2_28
; %bb.29:                               ;   in Loop: Header=BB2_27 Depth=1
	s_add_i32 s26, s26, 1
	s_cmp_lg_u32 s26, s35
	s_cbranch_scc1 .LBB2_27
; %bb.30:
	buffer_store_dword v43, off, s[0:3], 0 offset:4
	buffer_store_dword v52, off, s[0:3], 0
	buffer_store_dword v42, off, s[0:3], 0 offset:8
	buffer_store_dword v41, off, s[0:3], 0 offset:12
	s_and_saveexec_b64 s[4:5], s[14:15]
	s_cbranch_execz .LBB2_32
; %bb.31:
	buffer_load_dword v0, off, s[0:3], 0 offset:304 ; 4-byte Folded Reload
	buffer_load_dword v1, off, s[0:3], 0 offset:308 ; 4-byte Folded Reload
	v_mov_b32_e32 v5, 0
	v_mov_b32_e32 v3, s21
	v_mul_f32_e32 v2, 0.5, v52
	s_waitcnt vmcnt(1)
	v_mov_b32_e32 v4, v0
	s_waitcnt vmcnt(0)
	v_lshlrev_b64 v[0:1], 2, v[4:5]
	v_add_u32_e32 v4, s33, v4
	v_add_co_u32_e32 v0, vcc, s20, v0
	v_addc_co_u32_e32 v1, vcc, v3, v1, vcc
	global_store_dword v[0:1], v2, off
	v_lshlrev_b64 v[0:1], 2, v[4:5]
	v_mul_f32_e32 v2, 0.5, v43
	v_add_co_u32_e32 v0, vcc, s20, v0
	v_addc_co_u32_e32 v1, vcc, v3, v1, vcc
	v_add_u32_e32 v4, s33, v4
	global_store_dword v[0:1], v2, off
	v_lshlrev_b64 v[0:1], 2, v[4:5]
	v_mul_f32_e32 v2, 0.5, v42
	v_add_co_u32_e32 v0, vcc, s20, v0
	v_addc_co_u32_e32 v1, vcc, v3, v1, vcc
	v_add_u32_e32 v4, s33, v4
	global_store_dword v[0:1], v2, off
	v_lshlrev_b64 v[0:1], 2, v[4:5]
	v_mul_f32_e32 v2, 0.5, v41
	v_add_co_u32_e32 v0, vcc, s20, v0
	v_addc_co_u32_e32 v1, vcc, v3, v1, vcc
	global_store_dword v[0:1], v2, off
.LBB2_32:
	s_endpgm
	.section	.rodata,"a",@progbits
	.p2align	6, 0x0
	.amdhsa_kernel _ZL11fasten_mainILm4EEviiPK4AtomS2_PKfS4_S4_S4_S4_S4_PfPK8FFParamsi
		.amdhsa_group_segment_fixed_size 0
		.amdhsa_private_segment_fixed_size 320
		.amdhsa_kernarg_size 352
		.amdhsa_user_sgpr_count 6
		.amdhsa_user_sgpr_private_segment_buffer 1
		.amdhsa_user_sgpr_dispatch_ptr 0
		.amdhsa_user_sgpr_queue_ptr 0
		.amdhsa_user_sgpr_kernarg_segment_ptr 1
		.amdhsa_user_sgpr_dispatch_id 0
		.amdhsa_user_sgpr_flat_scratch_init 0
		.amdhsa_user_sgpr_private_segment_size 0
		.amdhsa_uses_dynamic_stack 0
		.amdhsa_system_sgpr_private_segment_wavefront_offset 1
		.amdhsa_system_sgpr_workgroup_id_x 1
		.amdhsa_system_sgpr_workgroup_id_y 0
		.amdhsa_system_sgpr_workgroup_id_z 0
		.amdhsa_system_sgpr_workgroup_info 0
		.amdhsa_system_vgpr_workitem_id 0
		.amdhsa_next_free_vgpr 64
		.amdhsa_next_free_sgpr 51
		.amdhsa_reserve_vcc 1
		.amdhsa_reserve_flat_scratch 0
		.amdhsa_float_round_mode_32 0
		.amdhsa_float_round_mode_16_64 0
		.amdhsa_float_denorm_mode_32 3
		.amdhsa_float_denorm_mode_16_64 3
		.amdhsa_dx10_clamp 1
		.amdhsa_ieee_mode 1
		.amdhsa_fp16_overflow 0
		.amdhsa_exception_fp_ieee_invalid_op 0
		.amdhsa_exception_fp_denorm_src 0
		.amdhsa_exception_fp_ieee_div_zero 0
		.amdhsa_exception_fp_ieee_overflow 0
		.amdhsa_exception_fp_ieee_underflow 0
		.amdhsa_exception_fp_ieee_inexact 0
		.amdhsa_exception_int_div_zero 0
	.end_amdhsa_kernel
	.section	.text._ZL11fasten_mainILm4EEviiPK4AtomS2_PKfS4_S4_S4_S4_S4_PfPK8FFParamsi,"axG",@progbits,_ZL11fasten_mainILm4EEviiPK4AtomS2_PKfS4_S4_S4_S4_S4_PfPK8FFParamsi,comdat
.Lfunc_end2:
	.size	_ZL11fasten_mainILm4EEviiPK4AtomS2_PKfS4_S4_S4_S4_S4_PfPK8FFParamsi, .Lfunc_end2-_ZL11fasten_mainILm4EEviiPK4AtomS2_PKfS4_S4_S4_S4_S4_PfPK8FFParamsi
                                        ; -- End function
	.set _ZL11fasten_mainILm4EEviiPK4AtomS2_PKfS4_S4_S4_S4_S4_PfPK8FFParamsi.num_vgpr, 64
	.set _ZL11fasten_mainILm4EEviiPK4AtomS2_PKfS4_S4_S4_S4_S4_PfPK8FFParamsi.num_agpr, 0
	.set _ZL11fasten_mainILm4EEviiPK4AtomS2_PKfS4_S4_S4_S4_S4_PfPK8FFParamsi.numbered_sgpr, 51
	.set _ZL11fasten_mainILm4EEviiPK4AtomS2_PKfS4_S4_S4_S4_S4_PfPK8FFParamsi.num_named_barrier, 0
	.set _ZL11fasten_mainILm4EEviiPK4AtomS2_PKfS4_S4_S4_S4_S4_PfPK8FFParamsi.private_seg_size, 320
	.set _ZL11fasten_mainILm4EEviiPK4AtomS2_PKfS4_S4_S4_S4_S4_PfPK8FFParamsi.uses_vcc, 1
	.set _ZL11fasten_mainILm4EEviiPK4AtomS2_PKfS4_S4_S4_S4_S4_PfPK8FFParamsi.uses_flat_scratch, 0
	.set _ZL11fasten_mainILm4EEviiPK4AtomS2_PKfS4_S4_S4_S4_S4_PfPK8FFParamsi.has_dyn_sized_stack, 0
	.set _ZL11fasten_mainILm4EEviiPK4AtomS2_PKfS4_S4_S4_S4_S4_PfPK8FFParamsi.has_recursion, 0
	.set _ZL11fasten_mainILm4EEviiPK4AtomS2_PKfS4_S4_S4_S4_S4_PfPK8FFParamsi.has_indirect_call, 0
	.section	.AMDGPU.csdata,"",@progbits
; Kernel info:
; codeLenInByte = 7772
; TotalNumSgprs: 55
; NumVgprs: 64
; ScratchSize: 320
; MemoryBound: 0
; FloatMode: 240
; IeeeMode: 1
; LDSByteSize: 0 bytes/workgroup (compile time only)
; SGPRBlocks: 6
; VGPRBlocks: 15
; NumSGPRsForWavesPerEU: 55
; NumVGPRsForWavesPerEU: 64
; Occupancy: 4
; WaveLimiterHint : 1
; COMPUTE_PGM_RSRC2:SCRATCH_EN: 1
; COMPUTE_PGM_RSRC2:USER_SGPR: 6
; COMPUTE_PGM_RSRC2:TRAP_HANDLER: 0
; COMPUTE_PGM_RSRC2:TGID_X_EN: 1
; COMPUTE_PGM_RSRC2:TGID_Y_EN: 0
; COMPUTE_PGM_RSRC2:TGID_Z_EN: 0
; COMPUTE_PGM_RSRC2:TIDIG_COMP_CNT: 0
	.section	.text._ZL11fasten_mainILm8EEviiPK4AtomS2_PKfS4_S4_S4_S4_S4_PfPK8FFParamsi,"axG",@progbits,_ZL11fasten_mainILm8EEviiPK4AtomS2_PKfS4_S4_S4_S4_S4_PfPK8FFParamsi,comdat
	.globl	_ZL11fasten_mainILm8EEviiPK4AtomS2_PKfS4_S4_S4_S4_S4_PfPK8FFParamsi ; -- Begin function _ZL11fasten_mainILm8EEviiPK4AtomS2_PKfS4_S4_S4_S4_S4_PfPK8FFParamsi
	.p2align	8
	.type	_ZL11fasten_mainILm8EEviiPK4AtomS2_PKfS4_S4_S4_S4_S4_PfPK8FFParamsi,@function
_ZL11fasten_mainILm8EEviiPK4AtomS2_PKfS4_S4_S4_S4_S4_PfPK8FFParamsi: ; @_ZL11fasten_mainILm8EEviiPK4AtomS2_PKfS4_S4_S4_S4_S4_PfPK8FFParamsi
; %bb.0:
	s_add_u32 s0, s0, s7
	s_load_dword s7, s[4:5], 0x6c
	s_load_dword s8, s[4:5], 0x58
	s_load_dwordx16 s[36:51], s[4:5], 0x8
	s_addc_u32 s1, s1, 0
	s_mov_b32 s19, 0
	s_waitcnt lgkmcnt(0)
	s_and_b32 s30, s7, 0xffff
	s_mul_i32 s6, s6, s30
	v_lshl_add_u32 v2, s6, 3, v0
	v_mov_b32_e32 v1, v2
	v_cmp_gt_i32_e64 s[16:17], s8, v2
	buffer_store_dword v1, off, s[0:3], 0 offset:768 ; 4-byte Folded Spill
	s_nop 0
	buffer_store_dword v2, off, s[0:3], 0 offset:772 ; 4-byte Folded Spill
	s_add_i32 s6, s8, -8
	v_mov_b32_e32 v0, s6
	s_lshl_b32 s18, s30, 2
	s_mov_b32 s20, 32
	s_brev_b32 s21, 18
	s_mov_b32 s22, 0xfe5163ab
	v_mov_b32_e32 v3, 0
	s_mov_b32 s23, 0x3c439041
	s_mov_b32 s24, 0xdb629599
	;; [unrolled: 1-line block ×9, first 2 shown]
	v_mov_b32_e32 v4, 0xbe2aaa9d
	v_mov_b32_e32 v5, 0x3d2aabf7
	;; [unrolled: 1-line block ×3, first 2 shown]
	s_movk_i32 s34, 0x1f8
	v_not_b32_e32 v7, 63
	v_not_b32_e32 v8, 31
	v_mov_b32_e32 v9, 0x7fc00000
	v_cndmask_b32_e64 v0, v0, v2, s[16:17]
	v_ashrrev_i32_e32 v1, 31, v0
	v_lshlrev_b64 v[0:1], 2, v[0:1]
	s_branch .LBB3_2
.LBB3_1:                                ;   in Loop: Header=BB3_2 Depth=1
	s_or_b64 exec, exec, s[6:7]
	v_mul_f32_e32 v26, v27, v27
	v_mov_b32_e32 v28, 0x3c0881c4
	v_fmac_f32_e32 v28, 0xb94c1982, v26
	v_fma_f32 v28, v26, v28, v4
	v_mul_f32_e32 v28, v26, v28
	v_fmac_f32_e32 v27, v27, v28
	v_mov_b32_e32 v28, 0xbab64f3b
	v_fmac_f32_e32 v28, 0x37d75334, v26
	v_fma_f32 v28, v26, v28, v5
	v_fma_f32 v28, v26, v28, v6
	v_fma_f32 v26, v26, v28, 1.0
	v_and_b32_e32 v28, 1, v25
	v_lshlrev_b32_e32 v25, 30, v25
	v_cmp_eq_u32_e32 vcc, 0, v28
	v_and_b32_e32 v25, 0x80000000, v25
	v_xor_b32_e32 v23, v23, v22
	v_cndmask_b32_e32 v26, v26, v27, vcc
	v_xor_b32_e32 v23, v23, v25
	v_xor_b32_e32 v23, v23, v26
	v_cmp_class_f32_e64 vcc, v22, s34
	v_cndmask_b32_e32 v22, v9, v23, vcc
	v_mul_f32_e32 v23, v21, v21
	v_mov_b32_e32 v25, 0x3c0881c4
	v_fmac_f32_e32 v25, 0xb94c1982, v23
	v_fma_f32 v25, v23, v25, v4
	v_mul_f32_e32 v25, v23, v25
	v_fmac_f32_e32 v21, v21, v25
	v_mov_b32_e32 v25, 0xbab64f3b
	v_fmac_f32_e32 v25, 0x37d75334, v23
	v_fma_f32 v25, v23, v25, v5
	v_fma_f32 v25, v23, v25, v6
	v_fma_f32 v23, v23, v25, 1.0
	v_and_b32_e32 v25, 1, v20
	v_cmp_eq_u32_e64 s[6:7], 0, v25
	v_lshlrev_b32_e32 v20, 30, v20
	v_cndmask_b32_e64 v21, -v21, v23, s[6:7]
	v_and_b32_e32 v20, 0x80000000, v20
	v_xor_b32_e32 v20, v20, v21
	v_mul_f32_e32 v21, v19, v19
	v_mov_b32_e32 v23, 0x3c0881c4
	v_fmac_f32_e32 v23, 0xb94c1982, v21
	v_fma_f32 v23, v21, v23, v4
	v_mul_f32_e32 v23, v21, v23
	v_fmac_f32_e32 v19, v19, v23
	v_mov_b32_e32 v23, 0xbab64f3b
	v_fmac_f32_e32 v23, 0x37d75334, v21
	v_fma_f32 v23, v21, v23, v5
	v_fma_f32 v23, v21, v23, v6
	v_fma_f32 v21, v21, v23, 1.0
	v_and_b32_e32 v23, 1, v18
	v_lshlrev_b32_e32 v18, 30, v18
	v_cmp_class_f32_e64 s[6:7], v16, s34
	v_cmp_eq_u32_e64 s[8:9], 0, v23
	v_and_b32_e32 v18, 0x80000000, v18
	v_xor_b32_e32 v16, v17, v16
	v_cndmask_b32_e64 v19, v21, v19, s[8:9]
	v_xor_b32_e32 v16, v16, v18
	v_xor_b32_e32 v16, v16, v19
	v_cndmask_b32_e64 v20, v9, v20, s[6:7]
	v_cndmask_b32_e64 v16, v9, v16, s[6:7]
	v_mov_b32_e32 v18, s47
	v_add_co_u32_e64 v17, s[6:7], s46, v0
	v_addc_co_u32_e64 v18, s[6:7], v18, v1, s[6:7]
	v_mul_f32_e32 v19, v15, v15
	global_load_dword v21, v[17:18], off
	v_mov_b32_e32 v17, 0x3c0881c4
	v_fmac_f32_e32 v17, 0xb94c1982, v19
	v_fma_f32 v23, v19, v17, v4
	v_mov_b32_e32 v18, s49
	v_add_co_u32_e64 v17, s[6:7], s48, v0
	v_addc_co_u32_e64 v18, s[6:7], v18, v1, s[6:7]
	global_load_dword v25, v[17:18], off
	v_mov_b32_e32 v18, s51
	v_add_co_u32_e64 v17, s[6:7], s50, v0
	v_addc_co_u32_e64 v18, s[6:7], v18, v1, s[6:7]
	global_load_dword v17, v[17:18], off
	v_mov_b32_e32 v18, 0xbab64f3b
	v_fmac_f32_e32 v18, 0x37d75334, v19
	v_fma_f32 v18, v19, v18, v5
	v_fma_f32 v18, v19, v18, v6
	v_mul_f32_e32 v23, v19, v23
	v_fma_f32 v18, v19, v18, 1.0
	v_and_b32_e32 v19, 1, v14
	v_fmac_f32_e32 v15, v15, v23
	v_cmp_eq_u32_e64 s[6:7], 0, v19
	v_lshlrev_b32_e32 v14, 30, v14
	v_cndmask_b32_e64 v15, -v15, v18, s[6:7]
	v_and_b32_e32 v14, 0x80000000, v14
	v_xor_b32_e32 v14, v14, v15
	v_mul_f32_e32 v15, v13, v13
	v_mov_b32_e32 v18, 0x3c0881c4
	v_fmac_f32_e32 v18, 0xb94c1982, v15
	v_fma_f32 v18, v15, v18, v4
	v_mul_f32_e32 v18, v15, v18
	v_fmac_f32_e32 v13, v13, v18
	v_mov_b32_e32 v18, 0xbab64f3b
	v_fmac_f32_e32 v18, 0x37d75334, v15
	v_fma_f32 v18, v15, v18, v5
	v_fma_f32 v18, v15, v18, v6
	v_fma_f32 v15, v15, v18, 1.0
	v_and_b32_e32 v18, 1, v12
	v_lshlrev_b32_e32 v12, 30, v12
	v_cmp_class_f32_e64 s[6:7], v10, s34
	v_and_b32_e32 v12, 0x80000000, v12
	v_xor_b32_e32 v10, v11, v10
	v_xor_b32_e32 v10, v10, v12
	v_mul_f32_e32 v11, v24, v24
	v_mov_b32_e32 v12, 0x3c0881c4
	v_fmac_f32_e32 v12, 0xb94c1982, v11
	v_fma_f32 v12, v11, v12, v4
	v_mul_f32_e32 v12, v11, v12
	v_fmac_f32_e32 v24, v24, v12
	v_mov_b32_e32 v12, 0xbab64f3b
	v_fmac_f32_e32 v12, 0x37d75334, v11
	v_cmp_eq_u32_e64 s[8:9], 0, v18
	v_fma_f32 v12, v11, v12, v5
	v_cndmask_b32_e64 v13, v15, v13, s[8:9]
	v_fma_f32 v12, v11, v12, v6
	v_xor_b32_e32 v10, v10, v13
	v_fma_f32 v11, v11, v12, 1.0
	v_and_b32_e32 v12, 1, v2
	v_cndmask_b32_e64 v14, v9, v14, s[6:7]
	v_cndmask_b32_e64 v10, v9, v10, s[6:7]
	v_cmp_eq_u32_e64 s[6:7], 0, v12
	v_lshlrev_b32_e32 v2, 30, v2
	v_cndmask_b32_e64 v11, -v24, v11, s[6:7]
	v_and_b32_e32 v2, 0x80000000, v2
	v_xor_b32_e32 v2, v2, v11
	v_cndmask_b32_e32 v2, v9, v2, vcc
	v_mul_f32_e32 v11, v20, v2
	v_mov_b32_e32 v12, s20
	buffer_store_dword v11, v12, s[0:3], 0 offen
	v_mul_f32_e32 v11, v10, v16
	v_mul_f32_e32 v13, v14, v22
	v_fma_f32 v13, v11, v2, -v13
	buffer_store_dword v13, v12, s[0:3], 0 offen offset:4
	v_mul_f32_e32 v13, v14, v16
	v_mul_f32_e32 v15, v13, v2
	v_fmac_f32_e32 v15, v10, v22
	buffer_store_dword v15, v12, s[0:3], 0 offen offset:8
	s_waitcnt vmcnt(5)
	buffer_store_dword v21, v12, s[0:3], 0 offen offset:12
	v_mul_f32_e32 v15, v20, v22
	buffer_store_dword v15, v12, s[0:3], 0 offen offset:16
	v_mul_f32_e32 v15, v14, v2
	v_mul_f32_e32 v2, v10, v2
	v_fmac_f32_e32 v15, v11, v22
	v_fma_f32 v2, v13, v22, -v2
	buffer_store_dword v15, v12, s[0:3], 0 offen offset:20
	buffer_store_dword v2, v12, s[0:3], 0 offen offset:24
	s_waitcnt vmcnt(8)
	buffer_store_dword v25, v12, s[0:3], 0 offen offset:28
	v_xor_b32_e32 v2, 0x80000000, v16
	buffer_store_dword v2, v12, s[0:3], 0 offen offset:32
	v_mul_f32_e32 v2, v10, v20
	buffer_store_dword v2, v12, s[0:3], 0 offen offset:36
	v_mul_f32_e32 v2, v14, v20
	buffer_store_dword v2, v12, s[0:3], 0 offen offset:40
	s_waitcnt vmcnt(11)
	buffer_store_dword v17, v12, s[0:3], 0 offen offset:44
	v_mov_b32_e32 v2, s19
	s_add_i32 s19, s19, 4
	s_add_u32 s40, s40, s18
	s_addc_u32 s41, s41, 0
	s_add_u32 s42, s42, s18
	s_addc_u32 s43, s43, 0
	;; [unrolled: 2-line block ×6, first 2 shown]
	s_add_i32 s20, s20, 48
	s_cmp_lg_u32 s19, 32
	buffer_store_dword v3, v2, s[0:3], 0 offen
	s_cbranch_scc0 .LBB3_26
.LBB3_2:                                ; =>This Inner Loop Header: Depth=1
	v_mov_b32_e32 v2, s41
	v_add_co_u32_e32 v10, vcc, s40, v0
	v_addc_co_u32_e32 v11, vcc, v2, v1, vcc
	global_load_dword v10, v[10:11], off
                                        ; implicit-def: $vgpr13
	s_waitcnt vmcnt(0)
	v_and_b32_e32 v11, 0x7fffffff, v10
	v_lshrrev_b32_e32 v2, 23, v11
	v_and_b32_e32 v12, 0x7fffff, v11
	v_cmp_nlt_f32_e64 s[12:13], |v10|, s21
	v_add_u32_e32 v17, 0xffffff88, v2
	v_or_b32_e32 v16, 0x800000, v12
                                        ; implicit-def: $vgpr12
	s_and_saveexec_b64 s[6:7], s[12:13]
	s_xor_b64 s[14:15], exec, s[6:7]
	s_cbranch_execz .LBB3_4
; %bb.3:                                ;   in Loop: Header=BB3_2 Depth=1
	v_mad_u64_u32 v[12:13], s[6:7], v16, s22, 0
	v_cmp_lt_u32_e32 vcc, 63, v17
	v_mov_b32_e32 v2, v13
	v_mad_u64_u32 v[13:14], s[6:7], v16, s23, v[2:3]
	v_mov_b32_e32 v2, v14
	v_mad_u64_u32 v[14:15], s[6:7], v16, s24, v[2:3]
	;; [unrolled: 2-line block ×3, first 2 shown]
	v_cndmask_b32_e32 v2, 0, v7, vcc
	v_add_u32_e32 v15, v2, v17
	v_mov_b32_e32 v2, v19
	v_mad_u64_u32 v[19:20], s[6:7], v16, s26, v[2:3]
	v_cmp_lt_u32_e64 s[6:7], 31, v15
	v_cndmask_b32_e64 v2, 0, v8, s[6:7]
	v_add_u32_e32 v15, v2, v15
	v_mov_b32_e32 v2, v20
	v_mad_u64_u32 v[20:21], s[8:9], v16, s27, v[2:3]
	v_cmp_lt_u32_e64 s[8:9], 31, v15
	v_cndmask_b32_e64 v2, 0, v8, s[8:9]
	v_add_u32_e32 v15, v2, v15
	v_mov_b32_e32 v2, v21
	v_mad_u64_u32 v[21:22], s[10:11], v16, s28, v[2:3]
	v_cndmask_b32_e32 v2, v19, v14, vcc
	v_cndmask_b32_e32 v23, v20, v18, vcc
	;; [unrolled: 1-line block ×4, first 2 shown]
	v_cndmask_b32_e64 v24, v23, v2, s[6:7]
	v_cndmask_b32_e64 v21, v19, v23, s[6:7]
	;; [unrolled: 1-line block ×3, first 2 shown]
	v_cndmask_b32_e32 v13, v18, v13, vcc
	v_cndmask_b32_e64 v19, v19, v21, s[8:9]
	v_cndmask_b32_e64 v20, v21, v24, s[8:9]
	v_sub_u32_e32 v21, 32, v15
	v_cndmask_b32_e64 v2, v2, v13, s[6:7]
	v_alignbit_b32 v22, v19, v20, v21
	v_cmp_eq_u32_e64 s[10:11], 0, v15
	v_cndmask_b32_e64 v18, v24, v2, s[8:9]
	v_cndmask_b32_e64 v15, v22, v19, s[10:11]
	v_alignbit_b32 v19, v20, v18, v21
	v_cndmask_b32_e32 v12, v14, v12, vcc
	v_cndmask_b32_e64 v19, v19, v20, s[10:11]
	v_bfe_u32 v23, v15, 29, 1
	v_cndmask_b32_e64 v12, v13, v12, s[6:7]
	v_alignbit_b32 v20, v15, v19, 30
	v_sub_u32_e32 v24, 0, v23
	v_cndmask_b32_e64 v2, v2, v12, s[8:9]
	v_xor_b32_e32 v20, v20, v24
	v_alignbit_b32 v12, v18, v2, v21
	v_cndmask_b32_e64 v12, v12, v18, s[10:11]
	v_ffbh_u32_e32 v14, v20
	v_alignbit_b32 v13, v19, v12, 30
	v_min_u32_e32 v14, 32, v14
	v_alignbit_b32 v2, v12, v2, 30
	v_xor_b32_e32 v13, v13, v24
	v_sub_u32_e32 v18, 31, v14
	v_xor_b32_e32 v2, v2, v24
	v_alignbit_b32 v19, v20, v13, v18
	v_alignbit_b32 v2, v13, v2, v18
	;; [unrolled: 1-line block ×3, first 2 shown]
	v_ffbh_u32_e32 v13, v12
	v_min_u32_e32 v13, 32, v13
	v_lshrrev_b32_e32 v22, 29, v15
	v_not_b32_e32 v18, v13
	v_alignbit_b32 v2, v12, v2, v18
	v_lshlrev_b32_e32 v12, 31, v22
	v_or_b32_e32 v18, 0x33000000, v12
	v_add_lshl_u32 v13, v13, v14, 23
	v_lshrrev_b32_e32 v2, 9, v2
	v_sub_u32_e32 v13, v18, v13
	v_or_b32_e32 v12, 0.5, v12
	v_lshlrev_b32_e32 v14, 23, v14
	v_or_b32_e32 v2, v13, v2
	v_lshrrev_b32_e32 v13, 9, v19
	v_sub_u32_e32 v12, v12, v14
	v_or_b32_e32 v12, v13, v12
	v_mul_f32_e32 v13, 0x3fc90fda, v12
	v_fma_f32 v14, v12, s29, -v13
	v_fmac_f32_e32 v14, 0x33a22168, v12
	v_fmac_f32_e32 v14, 0x3fc90fda, v2
	v_lshrrev_b32_e32 v2, 30, v15
	v_add_f32_e32 v13, v13, v14
	v_add_u32_e32 v12, v23, v2
.LBB3_4:                                ;   in Loop: Header=BB3_2 Depth=1
	s_or_saveexec_b64 s[6:7], s[14:15]
	v_mul_f32_e64 v2, |v10|, s31
	v_rndne_f32_e32 v2, v2
	s_xor_b64 exec, exec, s[6:7]
; %bb.5:                                ;   in Loop: Header=BB3_2 Depth=1
	v_cvt_i32_f32_e32 v12, v2
	v_fma_f32 v13, v2, s33, |v10|
	v_fmac_f32_e32 v13, 0xb3a22168, v2
	v_fmac_f32_e32 v13, 0xa7c234c4, v2
; %bb.6:                                ;   in Loop: Header=BB3_2 Depth=1
	s_or_b64 exec, exec, s[6:7]
                                        ; implicit-def: $vgpr14
                                        ; implicit-def: $vgpr15
	s_and_saveexec_b64 s[6:7], s[12:13]
	s_xor_b64 s[12:13], exec, s[6:7]
	s_cbranch_execz .LBB3_8
; %bb.7:                                ;   in Loop: Header=BB3_2 Depth=1
	v_mad_u64_u32 v[14:15], s[6:7], v16, s22, 0
	v_cmp_lt_u32_e32 vcc, 63, v17
	v_mov_b32_e32 v2, v15
	v_mad_u64_u32 v[18:19], s[6:7], v16, s23, v[2:3]
	v_mov_b32_e32 v2, v19
	v_mad_u64_u32 v[19:20], s[6:7], v16, s24, v[2:3]
	;; [unrolled: 2-line block ×3, first 2 shown]
	v_cndmask_b32_e32 v2, 0, v7, vcc
	v_add_u32_e32 v15, v2, v17
	v_mov_b32_e32 v2, v21
	v_mad_u64_u32 v[21:22], s[6:7], v16, s26, v[2:3]
	v_cmp_lt_u32_e64 s[6:7], 31, v15
	v_cndmask_b32_e64 v2, 0, v8, s[6:7]
	v_add_u32_e32 v15, v2, v15
	v_mov_b32_e32 v2, v22
	v_mad_u64_u32 v[22:23], s[8:9], v16, s27, v[2:3]
	v_cmp_lt_u32_e64 s[8:9], 31, v15
	v_cndmask_b32_e64 v2, 0, v8, s[8:9]
	v_add_u32_e32 v17, v2, v15
	v_mov_b32_e32 v2, v23
	v_mad_u64_u32 v[15:16], s[10:11], v16, s28, v[2:3]
	v_cndmask_b32_e32 v2, v21, v19, vcc
	v_cndmask_b32_e32 v23, v22, v20, vcc
	;; [unrolled: 1-line block ×4, first 2 shown]
	v_cndmask_b32_e64 v24, v23, v2, s[6:7]
	v_cndmask_b32_e64 v21, v15, v23, s[6:7]
	;; [unrolled: 1-line block ×5, first 2 shown]
	v_sub_u32_e32 v21, 32, v17
	v_alignbit_b32 v22, v15, v16, v21
	v_cmp_eq_u32_e64 s[10:11], 0, v17
	v_cndmask_b32_e64 v17, v22, v15, s[10:11]
	v_cndmask_b32_e32 v15, v20, v18, vcc
	v_cndmask_b32_e64 v2, v2, v15, s[6:7]
	v_cndmask_b32_e64 v18, v24, v2, s[8:9]
	v_cndmask_b32_e32 v14, v19, v14, vcc
	v_alignbit_b32 v20, v16, v18, v21
	v_cndmask_b32_e64 v14, v15, v14, s[6:7]
	v_cndmask_b32_e64 v16, v20, v16, s[10:11]
	v_bfe_u32 v23, v17, 29, 1
	v_cndmask_b32_e64 v2, v2, v14, s[8:9]
	v_alignbit_b32 v20, v17, v16, 30
	v_sub_u32_e32 v24, 0, v23
	v_alignbit_b32 v14, v18, v2, v21
	v_xor_b32_e32 v20, v20, v24
	v_cndmask_b32_e64 v14, v14, v18, s[10:11]
	v_alignbit_b32 v15, v16, v14, 30
	v_ffbh_u32_e32 v16, v20
	v_min_u32_e32 v16, 32, v16
	v_alignbit_b32 v2, v14, v2, 30
	v_xor_b32_e32 v15, v15, v24
	v_sub_u32_e32 v18, 31, v16
	v_xor_b32_e32 v2, v2, v24
	v_alignbit_b32 v19, v20, v15, v18
	v_alignbit_b32 v2, v15, v2, v18
	;; [unrolled: 1-line block ×3, first 2 shown]
	v_ffbh_u32_e32 v15, v14
	v_min_u32_e32 v15, 32, v15
	v_lshrrev_b32_e32 v22, 29, v17
	v_not_b32_e32 v18, v15
	v_alignbit_b32 v2, v14, v2, v18
	v_lshlrev_b32_e32 v14, 31, v22
	v_or_b32_e32 v18, 0x33000000, v14
	v_add_lshl_u32 v15, v15, v16, 23
	v_lshrrev_b32_e32 v2, 9, v2
	v_sub_u32_e32 v15, v18, v15
	v_or_b32_e32 v14, 0.5, v14
	v_lshlrev_b32_e32 v16, 23, v16
	v_or_b32_e32 v2, v15, v2
	v_lshrrev_b32_e32 v15, 9, v19
	v_sub_u32_e32 v14, v14, v16
	v_or_b32_e32 v14, v15, v14
	v_mul_f32_e32 v15, 0x3fc90fda, v14
	v_fma_f32 v16, v14, s29, -v15
	v_fmac_f32_e32 v16, 0x33a22168, v14
	v_fmac_f32_e32 v16, 0x3fc90fda, v2
	v_lshrrev_b32_e32 v2, 30, v17
	v_add_f32_e32 v15, v15, v16
	v_add_u32_e32 v14, v23, v2
                                        ; implicit-def: $vgpr2
	s_andn2_saveexec_b64 s[6:7], s[12:13]
	s_cbranch_execnz .LBB3_9
	s_branch .LBB3_10
.LBB3_8:                                ;   in Loop: Header=BB3_2 Depth=1
	s_andn2_saveexec_b64 s[6:7], s[12:13]
.LBB3_9:                                ;   in Loop: Header=BB3_2 Depth=1
	v_cvt_i32_f32_e32 v14, v2
	v_fma_f32 v15, v2, s33, |v10|
	v_fmac_f32_e32 v15, 0xb3a22168, v2
	v_fmac_f32_e32 v15, 0xa7c234c4, v2
.LBB3_10:                               ;   in Loop: Header=BB3_2 Depth=1
	s_or_b64 exec, exec, s[6:7]
	v_mov_b32_e32 v2, s43
	v_add_co_u32_e32 v16, vcc, s42, v0
	v_addc_co_u32_e32 v17, vcc, v2, v1, vcc
	global_load_dword v16, v[16:17], off
                                        ; implicit-def: $vgpr19
	s_waitcnt vmcnt(0)
	v_and_b32_e32 v17, 0x7fffffff, v16
	v_lshrrev_b32_e32 v2, 23, v17
	v_and_b32_e32 v18, 0x7fffff, v17
	v_cmp_nlt_f32_e64 s[12:13], |v16|, s21
	v_add_u32_e32 v23, 0xffffff88, v2
	v_or_b32_e32 v22, 0x800000, v18
                                        ; implicit-def: $vgpr18
	s_and_saveexec_b64 s[6:7], s[12:13]
	s_xor_b64 s[14:15], exec, s[6:7]
	s_cbranch_execz .LBB3_12
; %bb.11:                               ;   in Loop: Header=BB3_2 Depth=1
	v_mad_u64_u32 v[18:19], s[6:7], v22, s22, 0
	v_cmp_lt_u32_e32 vcc, 63, v23
	v_mov_b32_e32 v2, v19
	v_mad_u64_u32 v[19:20], s[6:7], v22, s23, v[2:3]
	v_mov_b32_e32 v2, v20
	v_mad_u64_u32 v[20:21], s[6:7], v22, s24, v[2:3]
	;; [unrolled: 2-line block ×3, first 2 shown]
	v_cndmask_b32_e32 v2, 0, v7, vcc
	v_add_u32_e32 v21, v2, v23
	v_mov_b32_e32 v2, v25
	v_mad_u64_u32 v[25:26], s[6:7], v22, s26, v[2:3]
	v_cmp_lt_u32_e64 s[6:7], 31, v21
	v_cndmask_b32_e64 v2, 0, v8, s[6:7]
	v_add_u32_e32 v21, v2, v21
	v_mov_b32_e32 v2, v26
	v_mad_u64_u32 v[26:27], s[8:9], v22, s27, v[2:3]
	v_cmp_lt_u32_e64 s[8:9], 31, v21
	v_cndmask_b32_e64 v2, 0, v8, s[8:9]
	v_add_u32_e32 v21, v2, v21
	v_mov_b32_e32 v2, v27
	v_mad_u64_u32 v[27:28], s[10:11], v22, s28, v[2:3]
	v_cndmask_b32_e32 v2, v25, v20, vcc
	v_cndmask_b32_e32 v29, v26, v24, vcc
	;; [unrolled: 1-line block ×4, first 2 shown]
	v_cndmask_b32_e64 v30, v29, v2, s[6:7]
	v_cndmask_b32_e64 v27, v25, v29, s[6:7]
	;; [unrolled: 1-line block ×3, first 2 shown]
	v_cndmask_b32_e32 v19, v24, v19, vcc
	v_cndmask_b32_e64 v25, v25, v27, s[8:9]
	v_cndmask_b32_e64 v26, v27, v30, s[8:9]
	v_sub_u32_e32 v27, 32, v21
	v_cndmask_b32_e64 v2, v2, v19, s[6:7]
	v_alignbit_b32 v28, v25, v26, v27
	v_cmp_eq_u32_e64 s[10:11], 0, v21
	v_cndmask_b32_e64 v24, v30, v2, s[8:9]
	v_cndmask_b32_e64 v21, v28, v25, s[10:11]
	v_alignbit_b32 v25, v26, v24, v27
	v_cndmask_b32_e32 v18, v20, v18, vcc
	v_cndmask_b32_e64 v25, v25, v26, s[10:11]
	v_bfe_u32 v29, v21, 29, 1
	v_cndmask_b32_e64 v18, v19, v18, s[6:7]
	v_alignbit_b32 v26, v21, v25, 30
	v_sub_u32_e32 v30, 0, v29
	v_cndmask_b32_e64 v2, v2, v18, s[8:9]
	v_xor_b32_e32 v26, v26, v30
	v_alignbit_b32 v18, v24, v2, v27
	v_cndmask_b32_e64 v18, v18, v24, s[10:11]
	v_ffbh_u32_e32 v20, v26
	v_alignbit_b32 v19, v25, v18, 30
	v_min_u32_e32 v20, 32, v20
	v_alignbit_b32 v2, v18, v2, 30
	v_xor_b32_e32 v19, v19, v30
	v_sub_u32_e32 v24, 31, v20
	v_xor_b32_e32 v2, v2, v30
	v_alignbit_b32 v25, v26, v19, v24
	v_alignbit_b32 v2, v19, v2, v24
	;; [unrolled: 1-line block ×3, first 2 shown]
	v_ffbh_u32_e32 v19, v18
	v_min_u32_e32 v19, 32, v19
	v_lshrrev_b32_e32 v28, 29, v21
	v_not_b32_e32 v24, v19
	v_alignbit_b32 v2, v18, v2, v24
	v_lshlrev_b32_e32 v18, 31, v28
	v_or_b32_e32 v24, 0x33000000, v18
	v_add_lshl_u32 v19, v19, v20, 23
	v_lshrrev_b32_e32 v2, 9, v2
	v_sub_u32_e32 v19, v24, v19
	v_or_b32_e32 v18, 0.5, v18
	v_lshlrev_b32_e32 v20, 23, v20
	v_or_b32_e32 v2, v19, v2
	v_lshrrev_b32_e32 v19, 9, v25
	v_sub_u32_e32 v18, v18, v20
	v_or_b32_e32 v18, v19, v18
	v_mul_f32_e32 v19, 0x3fc90fda, v18
	v_fma_f32 v20, v18, s29, -v19
	v_fmac_f32_e32 v20, 0x33a22168, v18
	v_fmac_f32_e32 v20, 0x3fc90fda, v2
	v_lshrrev_b32_e32 v2, 30, v21
	v_add_f32_e32 v19, v19, v20
	v_add_u32_e32 v18, v29, v2
.LBB3_12:                               ;   in Loop: Header=BB3_2 Depth=1
	s_or_saveexec_b64 s[6:7], s[14:15]
	v_mul_f32_e64 v2, |v16|, s31
	v_rndne_f32_e32 v2, v2
	s_xor_b64 exec, exec, s[6:7]
; %bb.13:                               ;   in Loop: Header=BB3_2 Depth=1
	v_cvt_i32_f32_e32 v18, v2
	v_fma_f32 v19, v2, s33, |v16|
	v_fmac_f32_e32 v19, 0xb3a22168, v2
	v_fmac_f32_e32 v19, 0xa7c234c4, v2
; %bb.14:                               ;   in Loop: Header=BB3_2 Depth=1
	s_or_b64 exec, exec, s[6:7]
                                        ; implicit-def: $vgpr20
                                        ; implicit-def: $vgpr21
	s_and_saveexec_b64 s[6:7], s[12:13]
	s_xor_b64 s[12:13], exec, s[6:7]
	s_cbranch_execz .LBB3_16
; %bb.15:                               ;   in Loop: Header=BB3_2 Depth=1
	v_mad_u64_u32 v[20:21], s[6:7], v22, s22, 0
	v_cmp_lt_u32_e32 vcc, 63, v23
	v_mov_b32_e32 v2, v21
	v_mad_u64_u32 v[24:25], s[6:7], v22, s23, v[2:3]
	v_mov_b32_e32 v2, v25
	v_mad_u64_u32 v[25:26], s[6:7], v22, s24, v[2:3]
	;; [unrolled: 2-line block ×3, first 2 shown]
	v_cndmask_b32_e32 v2, 0, v7, vcc
	v_add_u32_e32 v21, v2, v23
	v_mov_b32_e32 v2, v27
	v_mad_u64_u32 v[27:28], s[6:7], v22, s26, v[2:3]
	v_cmp_lt_u32_e64 s[6:7], 31, v21
	v_cndmask_b32_e64 v2, 0, v8, s[6:7]
	v_add_u32_e32 v21, v2, v21
	v_mov_b32_e32 v2, v28
	v_mad_u64_u32 v[28:29], s[8:9], v22, s27, v[2:3]
	v_cmp_lt_u32_e64 s[8:9], 31, v21
	v_cndmask_b32_e64 v2, 0, v8, s[8:9]
	v_add_u32_e32 v23, v2, v21
	v_mov_b32_e32 v2, v29
	v_mad_u64_u32 v[21:22], s[10:11], v22, s28, v[2:3]
	v_cndmask_b32_e32 v2, v27, v25, vcc
	v_cndmask_b32_e32 v29, v28, v26, vcc
	;; [unrolled: 1-line block ×4, first 2 shown]
	v_cndmask_b32_e64 v30, v29, v2, s[6:7]
	v_cndmask_b32_e64 v27, v21, v29, s[6:7]
	;; [unrolled: 1-line block ×5, first 2 shown]
	v_sub_u32_e32 v27, 32, v23
	v_alignbit_b32 v28, v21, v22, v27
	v_cmp_eq_u32_e64 s[10:11], 0, v23
	v_cndmask_b32_e64 v23, v28, v21, s[10:11]
	v_cndmask_b32_e32 v21, v26, v24, vcc
	v_cndmask_b32_e64 v2, v2, v21, s[6:7]
	v_cndmask_b32_e64 v24, v30, v2, s[8:9]
	v_cndmask_b32_e32 v20, v25, v20, vcc
	v_alignbit_b32 v26, v22, v24, v27
	v_cndmask_b32_e64 v20, v21, v20, s[6:7]
	v_cndmask_b32_e64 v22, v26, v22, s[10:11]
	v_bfe_u32 v29, v23, 29, 1
	v_cndmask_b32_e64 v2, v2, v20, s[8:9]
	v_alignbit_b32 v26, v23, v22, 30
	v_sub_u32_e32 v30, 0, v29
	v_alignbit_b32 v20, v24, v2, v27
	v_xor_b32_e32 v26, v26, v30
	v_cndmask_b32_e64 v20, v20, v24, s[10:11]
	v_alignbit_b32 v21, v22, v20, 30
	v_ffbh_u32_e32 v22, v26
	v_min_u32_e32 v22, 32, v22
	v_alignbit_b32 v2, v20, v2, 30
	v_xor_b32_e32 v21, v21, v30
	v_sub_u32_e32 v24, 31, v22
	v_xor_b32_e32 v2, v2, v30
	v_alignbit_b32 v25, v26, v21, v24
	v_alignbit_b32 v2, v21, v2, v24
	;; [unrolled: 1-line block ×3, first 2 shown]
	v_ffbh_u32_e32 v21, v20
	v_min_u32_e32 v21, 32, v21
	v_lshrrev_b32_e32 v28, 29, v23
	v_not_b32_e32 v24, v21
	v_alignbit_b32 v2, v20, v2, v24
	v_lshlrev_b32_e32 v20, 31, v28
	v_or_b32_e32 v24, 0x33000000, v20
	v_add_lshl_u32 v21, v21, v22, 23
	v_lshrrev_b32_e32 v2, 9, v2
	v_sub_u32_e32 v21, v24, v21
	v_or_b32_e32 v20, 0.5, v20
	v_lshlrev_b32_e32 v22, 23, v22
	v_or_b32_e32 v2, v21, v2
	v_lshrrev_b32_e32 v21, 9, v25
	v_sub_u32_e32 v20, v20, v22
	v_or_b32_e32 v20, v21, v20
	v_mul_f32_e32 v21, 0x3fc90fda, v20
	v_fma_f32 v22, v20, s29, -v21
	v_fmac_f32_e32 v22, 0x33a22168, v20
	v_fmac_f32_e32 v22, 0x3fc90fda, v2
	v_lshrrev_b32_e32 v2, 30, v23
	v_add_f32_e32 v21, v21, v22
	v_add_u32_e32 v20, v29, v2
                                        ; implicit-def: $vgpr2
	s_andn2_saveexec_b64 s[6:7], s[12:13]
	s_cbranch_execnz .LBB3_17
	s_branch .LBB3_18
.LBB3_16:                               ;   in Loop: Header=BB3_2 Depth=1
	s_andn2_saveexec_b64 s[6:7], s[12:13]
.LBB3_17:                               ;   in Loop: Header=BB3_2 Depth=1
	v_cvt_i32_f32_e32 v20, v2
	v_fma_f32 v21, v2, s33, |v16|
	v_fmac_f32_e32 v21, 0xb3a22168, v2
	v_fmac_f32_e32 v21, 0xa7c234c4, v2
.LBB3_18:                               ;   in Loop: Header=BB3_2 Depth=1
	s_or_b64 exec, exec, s[6:7]
	v_mov_b32_e32 v2, s45
	v_add_co_u32_e32 v22, vcc, s44, v0
	v_addc_co_u32_e32 v23, vcc, v2, v1, vcc
	global_load_dword v22, v[22:23], off
                                        ; implicit-def: $vgpr25
                                        ; implicit-def: $vgpr27
	s_waitcnt vmcnt(0)
	v_and_b32_e32 v23, 0x7fffffff, v22
	v_lshrrev_b32_e32 v2, 23, v23
	v_and_b32_e32 v24, 0x7fffff, v23
	v_cmp_nlt_f32_e64 s[12:13], |v22|, s21
	v_add_u32_e32 v28, 0xffffff88, v2
	v_or_b32_e32 v26, 0x800000, v24
	s_and_saveexec_b64 s[6:7], s[12:13]
	s_xor_b64 s[14:15], exec, s[6:7]
	s_cbranch_execz .LBB3_20
; %bb.19:                               ;   in Loop: Header=BB3_2 Depth=1
	v_mad_u64_u32 v[24:25], s[6:7], v26, s22, 0
	v_cmp_lt_u32_e32 vcc, 63, v28
	v_mov_b32_e32 v2, v25
	v_mad_u64_u32 v[29:30], s[6:7], v26, s23, v[2:3]
	v_mov_b32_e32 v2, v30
	v_mad_u64_u32 v[30:31], s[6:7], v26, s24, v[2:3]
	;; [unrolled: 2-line block ×3, first 2 shown]
	v_cndmask_b32_e32 v2, 0, v7, vcc
	v_add_u32_e32 v25, v2, v28
	v_mov_b32_e32 v2, v32
	v_mad_u64_u32 v[32:33], s[6:7], v26, s26, v[2:3]
	v_cmp_lt_u32_e64 s[6:7], 31, v25
	v_cndmask_b32_e64 v2, 0, v8, s[6:7]
	v_add_u32_e32 v25, v2, v25
	v_mov_b32_e32 v2, v33
	v_mad_u64_u32 v[33:34], s[8:9], v26, s27, v[2:3]
	v_cmp_lt_u32_e64 s[8:9], 31, v25
	v_cndmask_b32_e64 v2, 0, v8, s[8:9]
	v_add_u32_e32 v25, v2, v25
	v_mov_b32_e32 v2, v34
	v_mad_u64_u32 v[34:35], s[10:11], v26, s28, v[2:3]
	v_cndmask_b32_e32 v2, v32, v30, vcc
	v_cndmask_b32_e32 v27, v33, v31, vcc
	;; [unrolled: 1-line block ×4, first 2 shown]
	v_cndmask_b32_e64 v36, v27, v2, s[6:7]
	v_cndmask_b32_e64 v27, v32, v27, s[6:7]
	;; [unrolled: 1-line block ×3, first 2 shown]
	v_cndmask_b32_e32 v29, v31, v29, vcc
	v_cndmask_b32_e64 v32, v32, v27, s[8:9]
	v_cndmask_b32_e64 v27, v27, v36, s[8:9]
	v_sub_u32_e32 v33, 32, v25
	v_cndmask_b32_e64 v2, v2, v29, s[6:7]
	v_alignbit_b32 v34, v32, v27, v33
	v_cmp_eq_u32_e64 s[10:11], 0, v25
	v_cndmask_b32_e64 v31, v36, v2, s[8:9]
	v_cndmask_b32_e64 v25, v34, v32, s[10:11]
	v_alignbit_b32 v32, v27, v31, v33
	v_cndmask_b32_e32 v24, v30, v24, vcc
	v_cndmask_b32_e64 v27, v32, v27, s[10:11]
	v_bfe_u32 v35, v25, 29, 1
	v_cndmask_b32_e64 v24, v29, v24, s[6:7]
	v_alignbit_b32 v32, v25, v27, 30
	v_sub_u32_e32 v36, 0, v35
	v_cndmask_b32_e64 v2, v2, v24, s[8:9]
	v_xor_b32_e32 v32, v32, v36
	v_alignbit_b32 v24, v31, v2, v33
	v_cndmask_b32_e64 v24, v24, v31, s[10:11]
	v_ffbh_u32_e32 v29, v32
	v_alignbit_b32 v27, v27, v24, 30
	v_min_u32_e32 v29, 32, v29
	v_alignbit_b32 v2, v24, v2, 30
	v_xor_b32_e32 v27, v27, v36
	v_sub_u32_e32 v30, 31, v29
	v_xor_b32_e32 v2, v2, v36
	v_alignbit_b32 v31, v32, v27, v30
	v_alignbit_b32 v2, v27, v2, v30
	;; [unrolled: 1-line block ×3, first 2 shown]
	v_ffbh_u32_e32 v27, v24
	v_min_u32_e32 v27, 32, v27
	v_lshrrev_b32_e32 v34, 29, v25
	v_not_b32_e32 v30, v27
	v_alignbit_b32 v2, v24, v2, v30
	v_lshlrev_b32_e32 v24, 31, v34
	v_or_b32_e32 v30, 0x33000000, v24
	v_add_lshl_u32 v27, v27, v29, 23
	v_lshrrev_b32_e32 v2, 9, v2
	v_sub_u32_e32 v27, v30, v27
	v_or_b32_e32 v24, 0.5, v24
	v_lshlrev_b32_e32 v29, 23, v29
	v_or_b32_e32 v2, v27, v2
	v_lshrrev_b32_e32 v27, 9, v31
	v_sub_u32_e32 v24, v24, v29
	v_or_b32_e32 v24, v27, v24
	v_mul_f32_e32 v27, 0x3fc90fda, v24
	v_fma_f32 v29, v24, s29, -v27
	v_fmac_f32_e32 v29, 0x33a22168, v24
	v_fmac_f32_e32 v29, 0x3fc90fda, v2
	v_lshrrev_b32_e32 v2, 30, v25
	v_add_f32_e32 v27, v27, v29
	v_add_u32_e32 v25, v35, v2
.LBB3_20:                               ;   in Loop: Header=BB3_2 Depth=1
	s_or_saveexec_b64 s[6:7], s[14:15]
	v_mul_f32_e64 v2, |v22|, s31
	v_rndne_f32_e32 v29, v2
	s_xor_b64 exec, exec, s[6:7]
; %bb.21:                               ;   in Loop: Header=BB3_2 Depth=1
	v_cvt_i32_f32_e32 v25, v29
	v_fma_f32 v27, v29, s33, |v22|
	v_fmac_f32_e32 v27, 0xb3a22168, v29
	v_fmac_f32_e32 v27, 0xa7c234c4, v29
; %bb.22:                               ;   in Loop: Header=BB3_2 Depth=1
	s_or_b64 exec, exec, s[6:7]
                                        ; implicit-def: $vgpr2
                                        ; implicit-def: $vgpr24
	s_and_saveexec_b64 s[6:7], s[12:13]
	s_xor_b64 s[12:13], exec, s[6:7]
	s_cbranch_execz .LBB3_24
; %bb.23:                               ;   in Loop: Header=BB3_2 Depth=1
	v_mad_u64_u32 v[29:30], s[6:7], v26, s22, 0
	v_cmp_lt_u32_e32 vcc, 63, v28
	v_mov_b32_e32 v2, v30
	v_mad_u64_u32 v[30:31], s[6:7], v26, s23, v[2:3]
	v_mov_b32_e32 v2, v31
	v_mad_u64_u32 v[31:32], s[6:7], v26, s24, v[2:3]
	v_mov_b32_e32 v2, v32
	v_mad_u64_u32 v[32:33], s[6:7], v26, s25, v[2:3]
	v_cndmask_b32_e32 v2, 0, v7, vcc
	v_add_u32_e32 v24, v2, v28
	v_mov_b32_e32 v2, v33
	v_mad_u64_u32 v[33:34], s[6:7], v26, s26, v[2:3]
	v_cmp_lt_u32_e64 s[6:7], 31, v24
	v_cndmask_b32_e64 v2, 0, v8, s[6:7]
	v_add_u32_e32 v24, v2, v24
	v_mov_b32_e32 v2, v34
	v_mad_u64_u32 v[34:35], s[8:9], v26, s27, v[2:3]
	v_cmp_lt_u32_e64 s[8:9], 31, v24
	v_cndmask_b32_e64 v2, 0, v8, s[8:9]
	v_add_u32_e32 v24, v2, v24
	v_mov_b32_e32 v2, v35
	v_mad_u64_u32 v[35:36], s[10:11], v26, s28, v[2:3]
	v_cndmask_b32_e32 v2, v33, v31, vcc
	v_cndmask_b32_e32 v26, v34, v32, vcc
	;; [unrolled: 1-line block ×4, first 2 shown]
	v_cndmask_b32_e64 v28, v26, v2, s[6:7]
	v_cndmask_b32_e64 v26, v33, v26, s[6:7]
	;; [unrolled: 1-line block ×3, first 2 shown]
	v_sub_u32_e32 v34, 32, v24
	v_cmp_eq_u32_e64 s[10:11], 0, v24
	v_cndmask_b32_e32 v24, v32, v30, vcc
	v_cndmask_b32_e64 v33, v33, v26, s[8:9]
	v_cndmask_b32_e64 v26, v26, v28, s[8:9]
	;; [unrolled: 1-line block ×3, first 2 shown]
	v_alignbit_b32 v35, v33, v26, v34
	v_cndmask_b32_e64 v28, v28, v2, s[8:9]
	v_cndmask_b32_e64 v33, v35, v33, s[10:11]
	v_alignbit_b32 v30, v26, v28, v34
	v_cndmask_b32_e32 v29, v31, v29, vcc
	v_cndmask_b32_e64 v26, v30, v26, s[10:11]
	v_bfe_u32 v35, v33, 29, 1
	v_cndmask_b32_e64 v24, v24, v29, s[6:7]
	v_alignbit_b32 v30, v33, v26, 30
	v_sub_u32_e32 v36, 0, v35
	v_cndmask_b32_e64 v2, v2, v24, s[8:9]
	v_xor_b32_e32 v30, v30, v36
	v_alignbit_b32 v24, v28, v2, v34
	v_cndmask_b32_e64 v24, v24, v28, s[10:11]
	v_ffbh_u32_e32 v28, v30
	v_alignbit_b32 v26, v26, v24, 30
	v_min_u32_e32 v28, 32, v28
	v_alignbit_b32 v2, v24, v2, 30
	v_xor_b32_e32 v26, v26, v36
	v_sub_u32_e32 v29, 31, v28
	v_xor_b32_e32 v2, v2, v36
	v_alignbit_b32 v30, v30, v26, v29
	v_alignbit_b32 v2, v26, v2, v29
	;; [unrolled: 1-line block ×3, first 2 shown]
	v_ffbh_u32_e32 v26, v24
	v_min_u32_e32 v26, 32, v26
	v_lshrrev_b32_e32 v32, 29, v33
	v_not_b32_e32 v29, v26
	v_alignbit_b32 v2, v24, v2, v29
	v_lshlrev_b32_e32 v24, 31, v32
	v_or_b32_e32 v29, 0x33000000, v24
	v_add_lshl_u32 v26, v26, v28, 23
	v_lshrrev_b32_e32 v2, 9, v2
	v_sub_u32_e32 v26, v29, v26
	v_or_b32_e32 v24, 0.5, v24
	v_lshlrev_b32_e32 v28, 23, v28
	v_or_b32_e32 v2, v26, v2
	v_lshrrev_b32_e32 v26, 9, v30
	v_sub_u32_e32 v24, v24, v28
	v_or_b32_e32 v24, v26, v24
	v_mul_f32_e32 v26, 0x3fc90fda, v24
	v_fma_f32 v28, v24, s29, -v26
	v_fmac_f32_e32 v28, 0x33a22168, v24
	v_fmac_f32_e32 v28, 0x3fc90fda, v2
	v_lshrrev_b32_e32 v2, 30, v33
	v_add_f32_e32 v24, v26, v28
	v_add_u32_e32 v2, v35, v2
                                        ; implicit-def: $vgpr29
	s_andn2_saveexec_b64 s[6:7], s[12:13]
	s_cbranch_execz .LBB3_1
	s_branch .LBB3_25
.LBB3_24:                               ;   in Loop: Header=BB3_2 Depth=1
	s_andn2_saveexec_b64 s[6:7], s[12:13]
	s_cbranch_execz .LBB3_1
.LBB3_25:                               ;   in Loop: Header=BB3_2 Depth=1
	v_cvt_i32_f32_e32 v2, v29
	v_fma_f32 v24, v29, s33, |v22|
	v_fmac_f32_e32 v24, 0xb3a22168, v29
	v_fmac_f32_e32 v24, 0xa7c234c4, v29
	s_branch .LBB3_1
.LBB3_26:
	s_load_dwordx2 s[6:7], s[4:5], 0x0
	s_load_dwordx4 s[20:23], s[4:5], 0x48
	buffer_load_dword v0, off, s[0:3], 0 offset:64
	s_mov_b32 s25, 0
	s_movk_i32 s34, 0x46
	s_waitcnt lgkmcnt(0)
	s_max_i32 s31, s7, 1
	s_max_i32 s33, s6, 1
	s_add_u32 s18, s36, 8
	s_addc_u32 s19, s37, 0
	s_movk_i32 s35, 0x45
	s_mov_b32 s36, 0xf800000
	s_mov_b32 s24, s25
	v_mov_b32_e32 v62, 0
	v_mov_b32_e32 v63, 0x260
	;; [unrolled: 1-line block ×3, first 2 shown]
	s_waitcnt vmcnt(0)
	buffer_store_dword v0, off, s[0:3], 0 offset:416 ; 4-byte Folded Spill
	buffer_load_dword v0, off, s[0:3], 0 offset:68
	s_waitcnt vmcnt(0)
	buffer_store_dword v0, off, s[0:3], 0 offset:420 ; 4-byte Folded Spill
	buffer_load_dword v0, off, s[0:3], 0 offset:72
	;; [unrolled: 3-line block ×88, first 2 shown]
	buffer_load_dword v55, off, s[0:3], 0 offset:36
	buffer_load_dword v56, off, s[0:3], 0 offset:40
	;; [unrolled: 1-line block ×6, first 2 shown]
	buffer_load_dword v40, off, s[0:3], 0
	buffer_load_dword v58, off, s[0:3], 0 offset:48
	buffer_load_dword v59, off, s[0:3], 0 offset:52
	;; [unrolled: 1-line block ×8, first 2 shown]
.LBB3_27:                               ; =>This Loop Header: Depth=1
                                        ;     Child Loop BB3_28 Depth 2
	s_lshl_b64 s[4:5], s[24:25], 4
	s_add_u32 s4, s38, s4
	s_addc_u32 s5, s39, s5
	global_load_dwordx4 v[0:3], v62, s[4:5]
	buffer_load_dword v5, off, s[0:3], 0 offset:416 ; 4-byte Folded Reload
	buffer_load_dword v6, off, s[0:3], 0 offset:428 ; 4-byte Folded Reload
	s_mov_b32 s37, s31
	s_mov_b64 s[26:27], s[18:19]
	s_waitcnt vmcnt(2)
	v_fma_f32 v9, v0, v53, v57
	s_waitcnt vmcnt(0)
	v_fma_f32 v11, v0, v5, v6
	buffer_load_dword v5, off, s[0:3], 0 offset:420 ; 4-byte Folded Reload
	v_fma_f32 v10, v0, v58, v61
	v_ashrrev_i32_e32 v4, 31, v3
	v_fmac_f32_e32 v9, v1, v55
	v_fmac_f32_e32 v10, v1, v59
	;; [unrolled: 1-line block ×4, first 2 shown]
	s_waitcnt vmcnt(0)
	v_fmac_f32_e32 v11, v1, v5
	buffer_load_dword v5, off, s[0:3], 0 offset:432 ; 4-byte Folded Reload
	buffer_load_dword v6, off, s[0:3], 0 offset:444 ; 4-byte Folded Reload
	s_waitcnt vmcnt(0)
	v_fma_f32 v13, v0, v5, v6
	buffer_load_dword v5, off, s[0:3], 0 offset:436 ; 4-byte Folded Reload
	s_waitcnt vmcnt(0)
	v_fmac_f32_e32 v13, v1, v5
	buffer_load_dword v5, off, s[0:3], 0 offset:448 ; 4-byte Folded Reload
	buffer_load_dword v6, off, s[0:3], 0 offset:452 ; 4-byte Folded Reload
	s_waitcnt vmcnt(0)
	v_fma_f32 v14, v0, v6, v5
	buffer_load_dword v5, off, s[0:3], 0 offset:456 ; 4-byte Folded Reload
	;; [unrolled: 7-line block ×21, first 2 shown]
	s_waitcnt vmcnt(0)
	v_fmac_f32_e32 v34, v1, v0
	buffer_load_dword v0, off, s[0:3], 0 offset:424 ; 4-byte Folded Reload
	s_waitcnt vmcnt(0)
	v_fmac_f32_e32 v11, v2, v0
	buffer_load_dword v0, off, s[0:3], 0 offset:440 ; 4-byte Folded Reload
	s_waitcnt vmcnt(0)
	v_fmac_f32_e32 v13, v2, v0
	buffer_load_dword v0, off, s[0:3], 0 offset:476 ; 4-byte Folded Reload
	s_waitcnt vmcnt(0)
	v_fmac_f32_e32 v14, v2, v0
	buffer_load_dword v0, off, s[0:3], 0 offset:472 ; 4-byte Folded Reload
	s_waitcnt vmcnt(0)
	v_fmac_f32_e32 v15, v2, v0
	buffer_load_dword v0, off, s[0:3], 0 offset:508 ; 4-byte Folded Reload
	s_waitcnt vmcnt(0)
	v_fmac_f32_e32 v16, v2, v0
	buffer_load_dword v0, off, s[0:3], 0 offset:504 ; 4-byte Folded Reload
	s_waitcnt vmcnt(0)
	v_fmac_f32_e32 v17, v2, v0
	buffer_load_dword v0, off, s[0:3], 0 offset:540 ; 4-byte Folded Reload
	s_waitcnt vmcnt(0)
	v_fmac_f32_e32 v18, v2, v0
	buffer_load_dword v0, off, s[0:3], 0 offset:536 ; 4-byte Folded Reload
	s_waitcnt vmcnt(0)
	v_fmac_f32_e32 v19, v2, v0
	buffer_load_dword v0, off, s[0:3], 0 offset:572 ; 4-byte Folded Reload
	s_waitcnt vmcnt(0)
	v_fmac_f32_e32 v20, v2, v0
	buffer_load_dword v0, off, s[0:3], 0 offset:568 ; 4-byte Folded Reload
	s_waitcnt vmcnt(0)
	v_fmac_f32_e32 v21, v2, v0
	buffer_load_dword v0, off, s[0:3], 0 offset:604 ; 4-byte Folded Reload
	s_waitcnt vmcnt(0)
	v_fmac_f32_e32 v22, v2, v0
	buffer_load_dword v0, off, s[0:3], 0 offset:600 ; 4-byte Folded Reload
	s_waitcnt vmcnt(0)
	v_fmac_f32_e32 v23, v2, v0
	buffer_load_dword v0, off, s[0:3], 0 offset:636 ; 4-byte Folded Reload
	s_waitcnt vmcnt(0)
	v_fmac_f32_e32 v24, v2, v0
	buffer_load_dword v0, off, s[0:3], 0 offset:632 ; 4-byte Folded Reload
	s_waitcnt vmcnt(0)
	v_fmac_f32_e32 v25, v2, v0
	buffer_load_dword v0, off, s[0:3], 0 offset:668 ; 4-byte Folded Reload
	s_waitcnt vmcnt(0)
	v_fmac_f32_e32 v27, v2, v0
	buffer_load_dword v0, off, s[0:3], 0 offset:664 ; 4-byte Folded Reload
	s_waitcnt vmcnt(0)
	v_fmac_f32_e32 v28, v2, v0
	buffer_load_dword v0, off, s[0:3], 0 offset:700 ; 4-byte Folded Reload
	s_waitcnt vmcnt(0)
	v_fmac_f32_e32 v29, v2, v0
	buffer_load_dword v0, off, s[0:3], 0 offset:696 ; 4-byte Folded Reload
	s_waitcnt vmcnt(0)
	v_fmac_f32_e32 v30, v2, v0
	buffer_load_dword v0, off, s[0:3], 0 offset:732 ; 4-byte Folded Reload
	s_waitcnt vmcnt(0)
	v_fmac_f32_e32 v31, v2, v0
	buffer_load_dword v0, off, s[0:3], 0 offset:728 ; 4-byte Folded Reload
	s_waitcnt vmcnt(0)
	v_fmac_f32_e32 v32, v2, v0
	buffer_load_dword v0, off, s[0:3], 0 offset:764 ; 4-byte Folded Reload
	s_waitcnt vmcnt(0)
	v_fmac_f32_e32 v33, v2, v0
	buffer_load_dword v0, off, s[0:3], 0 offset:760 ; 4-byte Folded Reload
	s_waitcnt vmcnt(0)
	v_fmac_f32_e32 v34, v2, v0
	v_lshlrev_b64 v[0:1], 4, v[3:4]
	v_mov_b32_e32 v2, s23
	v_add_co_u32_e32 v0, vcc, s22, v0
	v_addc_co_u32_e32 v1, vcc, v2, v1, vcc
	global_load_dwordx4 v[0:3], v[0:1], off
	v_mov_b32_e32 v4, 0xff7fffff
	s_waitcnt vmcnt(0)
	v_cmp_eq_u32_e64 s[8:9], s34, v0
	v_cmp_eq_u32_e64 s[10:11], s35, v0
	v_cmp_gt_f32_e64 s[12:13], 0, v2
	v_mov_b32_e32 v0, 0x40b00000
	v_cmp_lt_f32_e64 s[6:7], 0, v2
	v_cndmask_b32_e64 v0, 1.0, v0, s[12:13]
	v_cndmask_b32_e64 v35, v4, 1.0, s[12:13]
.LBB3_28:                               ;   Parent Loop BB3_27 Depth=1
                                        ; =>  This Inner Loop Header: Depth=2
	global_load_dwordx4 v[4:7], v62, s[26:27] offset:-8
	s_waitcnt vmcnt(0)
	v_ashrrev_i32_e32 v37, 31, v7
	v_mov_b32_e32 v36, v7
	v_lshlrev_b64 v[36:37], 4, v[36:37]
	v_mov_b32_e32 v7, s23
	v_add_co_u32_e32 v36, vcc, s22, v36
	v_addc_co_u32_e32 v37, vcc, v7, v37, vcc
	global_load_dwordx4 v[36:39], v[36:37], off
	s_waitcnt vmcnt(0)
	v_add_f32_e32 v44, v1, v37
	v_div_scale_f32 v7, s[4:5], v44, v44, 1.0
	v_cmp_lt_f32_e64 s[4:5], 0, v38
	s_and_b64 s[4:5], s[4:5], s[12:13]
	v_cmp_neq_f32_e64 s[14:15], 0, v38
	v_mul_f32_e32 v39, v3, v39
	v_rcp_f32_e32 v37, v7
	v_fma_f32 v45, -v7, v37, 1.0
	v_fmac_f32_e32 v37, v45, v37
	v_div_scale_f32 v45, vcc, 1.0, v44, 1.0
	v_mul_f32_e32 v46, v45, v37
	v_fma_f32 v47, -v7, v46, v45
	v_fmac_f32_e32 v46, v47, v37
	v_fma_f32 v7, -v7, v46, v45
	v_div_fmas_f32 v7, v7, v37, v46
	v_cmp_eq_u32_e32 vcc, s34, v36
	s_and_b64 vcc, vcc, s[8:9]
	v_cndmask_b32_e64 v37, 2.0, 4.0, vcc
	v_cndmask_b32_e64 v47, v2, -v2, s[4:5]
	v_div_fixup_f32 v45, v7, v44, 1.0
	v_mov_b32_e32 v7, 0x3e800000
	v_cndmask_b32_e32 v46, 0.5, v7, vcc
	v_cmp_eq_u32_e32 vcc, s35, v36
	s_or_b64 s[28:29], vcc, s[10:11]
	v_cmp_gt_f32_e32 vcc, 0, v38
	s_and_b64 s[40:41], vcc, s[6:7]
	v_cndmask_b32_e32 v36, v35, v0, vcc
	v_cndmask_b32_e64 v7, v38, -v38, s[40:41]
	v_div_scale_f32 v38, s[4:5], v36, v36, 1.0
	v_add_f32_e32 v7, v7, v47
	v_sub_f32_e32 v47, v9, v4
	v_rcp_f32_e32 v48, v38
	v_fma_f32 v49, -v38, v48, 1.0
	v_fmac_f32_e32 v48, v49, v48
	v_div_scale_f32 v49, vcc, 1.0, v36, 1.0
	v_mul_f32_e32 v50, v49, v48
	v_fma_f32 v51, -v38, v50, v49
	v_fmac_f32_e32 v50, v51, v48
	v_fma_f32 v38, -v38, v50, v49
	v_div_fmas_f32 v38, v38, v48, v50
	v_sub_f32_e32 v48, v10, v5
	v_mul_f32_e32 v48, v48, v48
	v_sub_f32_e32 v49, v11, v6
	v_fmac_f32_e32 v48, v47, v47
	v_fmac_f32_e32 v48, v49, v49
	v_cmp_gt_f32_e32 vcc, s36, v48
	v_mul_f32_e32 v47, 0x4f800000, v48
	v_cndmask_b32_e32 v47, v48, v47, vcc
	v_sqrt_f32_e32 v48, v47
	v_add_u32_e32 v49, -1, v48
	v_fma_f32 v50, -v49, v48, v47
	v_cmp_ge_f32_e64 s[4:5], 0, v50
	v_add_u32_e32 v50, 1, v48
	v_cndmask_b32_e64 v49, v48, v49, s[4:5]
	v_fma_f32 v48, -v50, v48, v47
	v_cmp_lt_f32_e64 s[4:5], 0, v48
	v_cndmask_b32_e64 v48, v49, v50, s[4:5]
	v_mul_f32_e32 v49, 0x37800000, v48
	v_cndmask_b32_e32 v48, v48, v49, vcc
	v_cmp_class_f32_e32 vcc, v47, v63
	v_cndmask_b32_e32 v47, v48, v47, vcc
	v_sub_f32_e32 v48, v47, v44
	v_cmp_gt_f32_e32 vcc, 0, v48
	v_fma_f32 v47, -v45, v47, 1.0
	v_cndmask_b32_e32 v49, 0, v8, vcc
	v_fmac_f32_e32 v40, v47, v49
	v_fma_f32 v47, -v46, v48, 1.0
	v_cmp_lt_f32_e64 s[4:5], v48, v37
	v_cndmask_b32_e64 v47, v47, 1.0, vcc
	v_cndmask_b32_e64 v49, 0, 1.0, s[4:5]
	v_mul_f32_e32 v47, v49, v47
	v_mul_f32_e32 v47, v39, v47
	v_cmp_lt_f32_e64 s[4:5], v48, v36
	v_div_fixup_f32 v38, v38, v36, 1.0
	v_cndmask_b32_e64 v47, v47, -|v47|, s[28:29]
	s_and_b64 s[4:5], s[14:15], s[4:5]
	v_fmac_f32_e32 v40, 0x42340000, v47
	v_fma_f32 v47, -v38, v48, 1.0
	v_cndmask_b32_e64 v48, 0, 1.0, s[4:5]
	v_mul_f32_e32 v48, v7, v48
	v_cndmask_b32_e64 v47, v47, 1.0, vcc
	v_fmac_f32_e32 v40, v47, v48
	v_sub_f32_e32 v48, v14, v5
	v_sub_f32_e32 v47, v13, v4
	v_mul_f32_e32 v48, v48, v48
	v_sub_f32_e32 v49, v15, v6
	v_fmac_f32_e32 v48, v47, v47
	v_fmac_f32_e32 v48, v49, v49
	v_cmp_gt_f32_e32 vcc, s36, v48
	v_mul_f32_e32 v47, 0x4f800000, v48
	v_cndmask_b32_e32 v47, v48, v47, vcc
	v_sqrt_f32_e32 v48, v47
	v_add_u32_e32 v49, -1, v48
	v_fma_f32 v50, -v49, v48, v47
	v_cmp_ge_f32_e64 s[4:5], 0, v50
	v_add_u32_e32 v50, 1, v48
	v_cndmask_b32_e64 v49, v48, v49, s[4:5]
	v_fma_f32 v48, -v50, v48, v47
	v_cmp_lt_f32_e64 s[4:5], 0, v48
	v_cndmask_b32_e64 v48, v49, v50, s[4:5]
	v_mul_f32_e32 v49, 0x37800000, v48
	v_cndmask_b32_e32 v48, v48, v49, vcc
	v_cmp_class_f32_e32 vcc, v47, v63
	v_cndmask_b32_e32 v47, v48, v47, vcc
	v_sub_f32_e32 v48, v47, v44
	v_cmp_gt_f32_e32 vcc, 0, v48
	v_fma_f32 v47, -v45, v47, 1.0
	v_cndmask_b32_e32 v49, 0, v8, vcc
	v_fmac_f32_e32 v26, v47, v49
	v_fma_f32 v47, -v46, v48, 1.0
	v_cmp_lt_f32_e64 s[4:5], v48, v37
	v_cndmask_b32_e64 v47, v47, 1.0, vcc
	v_cndmask_b32_e64 v49, 0, 1.0, s[4:5]
	v_mul_f32_e32 v47, v49, v47
	v_mul_f32_e32 v47, v39, v47
	v_cmp_lt_f32_e64 s[4:5], v48, v36
	v_cndmask_b32_e64 v47, v47, -|v47|, s[28:29]
	s_and_b64 s[4:5], s[14:15], s[4:5]
	v_fmac_f32_e32 v26, 0x42340000, v47
	v_fma_f32 v47, -v38, v48, 1.0
	v_cndmask_b32_e64 v48, 0, 1.0, s[4:5]
	v_mul_f32_e32 v48, v7, v48
	v_cndmask_b32_e64 v47, v47, 1.0, vcc
	v_fmac_f32_e32 v26, v47, v48
	v_sub_f32_e32 v48, v17, v5
	v_sub_f32_e32 v47, v16, v4
	v_mul_f32_e32 v48, v48, v48
	v_sub_f32_e32 v49, v18, v6
	v_fmac_f32_e32 v48, v47, v47
	v_fmac_f32_e32 v48, v49, v49
	v_cmp_gt_f32_e32 vcc, s36, v48
	v_mul_f32_e32 v47, 0x4f800000, v48
	v_cndmask_b32_e32 v47, v48, v47, vcc
	v_sqrt_f32_e32 v48, v47
	v_add_u32_e32 v49, -1, v48
	v_fma_f32 v50, -v49, v48, v47
	v_cmp_ge_f32_e64 s[4:5], 0, v50
	v_add_u32_e32 v50, 1, v48
	v_cndmask_b32_e64 v49, v48, v49, s[4:5]
	v_fma_f32 v48, -v50, v48, v47
	v_cmp_lt_f32_e64 s[4:5], 0, v48
	v_cndmask_b32_e64 v48, v49, v50, s[4:5]
	v_mul_f32_e32 v49, 0x37800000, v48
	v_cndmask_b32_e32 v48, v48, v49, vcc
	v_cmp_class_f32_e32 vcc, v47, v63
	v_cndmask_b32_e32 v47, v48, v47, vcc
	v_sub_f32_e32 v48, v47, v44
	v_cmp_gt_f32_e32 vcc, 0, v48
	v_fma_f32 v47, -v45, v47, 1.0
	v_cndmask_b32_e32 v49, 0, v8, vcc
	v_fmac_f32_e32 v12, v47, v49
	v_fma_f32 v47, -v46, v48, 1.0
	v_cmp_lt_f32_e64 s[4:5], v48, v37
	v_cndmask_b32_e64 v47, v47, 1.0, vcc
	v_cndmask_b32_e64 v49, 0, 1.0, s[4:5]
	v_mul_f32_e32 v47, v49, v47
	v_mul_f32_e32 v47, v39, v47
	v_cmp_lt_f32_e64 s[4:5], v48, v36
	;; [unrolled: 42-line block ×5, first 2 shown]
	v_cndmask_b32_e64 v47, v47, -|v47|, s[28:29]
	s_and_b64 s[4:5], s[14:15], s[4:5]
	v_fmac_f32_e32 v43, 0x42340000, v47
	v_fma_f32 v47, -v38, v48, 1.0
	v_cndmask_b32_e64 v48, 0, 1.0, s[4:5]
	v_mul_f32_e32 v48, v7, v48
	v_cndmask_b32_e64 v47, v47, 1.0, vcc
	v_fmac_f32_e32 v43, v47, v48
	v_sub_f32_e32 v48, v30, v5
	v_sub_f32_e32 v47, v29, v4
	v_mul_f32_e32 v48, v48, v48
	v_sub_f32_e32 v49, v31, v6
	v_fmac_f32_e32 v48, v47, v47
	v_fmac_f32_e32 v48, v49, v49
	v_cmp_gt_f32_e32 vcc, s36, v48
	v_mul_f32_e32 v47, 0x4f800000, v48
	v_cndmask_b32_e32 v47, v48, v47, vcc
	v_sqrt_f32_e32 v48, v47
	v_sub_f32_e32 v5, v33, v5
	v_mul_f32_e32 v5, v5, v5
	v_add_u32_e32 v49, -1, v48
	v_fma_f32 v50, -v49, v48, v47
	v_cmp_ge_f32_e64 s[4:5], 0, v50
	v_add_u32_e32 v50, 1, v48
	v_cndmask_b32_e64 v49, v48, v49, s[4:5]
	v_fma_f32 v48, -v50, v48, v47
	v_cmp_lt_f32_e64 s[4:5], 0, v48
	v_cndmask_b32_e64 v48, v49, v50, s[4:5]
	v_mul_f32_e32 v49, 0x37800000, v48
	v_cndmask_b32_e32 v48, v48, v49, vcc
	v_cmp_class_f32_e32 vcc, v47, v63
	v_cndmask_b32_e32 v47, v48, v47, vcc
	v_sub_f32_e32 v48, v47, v44
	v_cmp_gt_f32_e32 vcc, 0, v48
	v_fma_f32 v47, -v45, v47, 1.0
	v_cndmask_b32_e32 v49, 0, v8, vcc
	v_fmac_f32_e32 v42, v47, v49
	v_fma_f32 v47, -v46, v48, 1.0
	v_cmp_lt_f32_e64 s[4:5], v48, v37
	v_cndmask_b32_e64 v47, v47, 1.0, vcc
	v_cndmask_b32_e64 v49, 0, 1.0, s[4:5]
	v_mul_f32_e32 v47, v49, v47
	v_mul_f32_e32 v47, v39, v47
	v_cmp_lt_f32_e64 s[4:5], v48, v36
	v_cndmask_b32_e64 v47, v47, -|v47|, s[28:29]
	s_and_b64 s[4:5], s[14:15], s[4:5]
	v_fmac_f32_e32 v42, 0x42340000, v47
	v_fma_f32 v47, -v38, v48, 1.0
	v_cndmask_b32_e64 v48, 0, 1.0, s[4:5]
	v_mul_f32_e32 v48, v7, v48
	v_cndmask_b32_e64 v47, v47, 1.0, vcc
	v_fmac_f32_e32 v42, v47, v48
	v_sub_f32_e32 v47, v32, v4
	v_sub_f32_e32 v4, v34, v6
	v_fmac_f32_e32 v5, v47, v47
	v_fmac_f32_e32 v5, v4, v4
	v_cmp_gt_f32_e32 vcc, s36, v5
	v_mul_f32_e32 v4, 0x4f800000, v5
	v_cndmask_b32_e32 v4, v5, v4, vcc
	v_sqrt_f32_e32 v5, v4
	v_add_u32_e32 v6, -1, v5
	v_fma_f32 v47, -v6, v5, v4
	v_cmp_ge_f32_e64 s[4:5], 0, v47
	v_add_u32_e32 v47, 1, v5
	v_cndmask_b32_e64 v6, v5, v6, s[4:5]
	v_fma_f32 v5, -v47, v5, v4
	v_cmp_lt_f32_e64 s[4:5], 0, v5
	v_cndmask_b32_e64 v5, v6, v47, s[4:5]
	v_mul_f32_e32 v6, 0x37800000, v5
	v_cndmask_b32_e32 v5, v5, v6, vcc
	v_cmp_class_f32_e32 vcc, v4, v63
	v_cndmask_b32_e32 v4, v5, v4, vcc
	v_sub_f32_e32 v5, v4, v44
	v_cmp_gt_f32_e32 vcc, 0, v5
	v_fma_f32 v4, -v45, v4, 1.0
	v_cndmask_b32_e32 v6, 0, v8, vcc
	v_fmac_f32_e32 v41, v4, v6
	v_fma_f32 v4, -v46, v5, 1.0
	v_cmp_lt_f32_e64 s[4:5], v5, v37
	v_cndmask_b32_e64 v4, v4, 1.0, vcc
	v_cndmask_b32_e64 v6, 0, 1.0, s[4:5]
	v_mul_f32_e32 v4, v6, v4
	v_mul_f32_e32 v4, v39, v4
	v_cmp_lt_f32_e64 s[4:5], v5, v36
	v_cndmask_b32_e64 v4, v4, -|v4|, s[28:29]
	s_and_b64 s[4:5], s[14:15], s[4:5]
	v_fmac_f32_e32 v41, 0x42340000, v4
	v_fma_f32 v4, -v38, v5, 1.0
	v_cndmask_b32_e64 v5, 0, 1.0, s[4:5]
	s_add_u32 s26, s26, 16
	v_mul_f32_e32 v5, v7, v5
	v_cndmask_b32_e64 v4, v4, 1.0, vcc
	s_addc_u32 s27, s27, 0
	s_add_i32 s37, s37, -1
	v_fmac_f32_e32 v41, v4, v5
	s_cmp_lg_u32 s37, 0
	s_cbranch_scc1 .LBB3_28
; %bb.29:                               ;   in Loop: Header=BB3_27 Depth=1
	s_add_i32 s24, s24, 1
	s_cmp_lg_u32 s24, s33
	s_cbranch_scc1 .LBB3_27
; %bb.30:
	buffer_store_dword v40, off, s[0:3], 0
	buffer_store_dword v26, off, s[0:3], 0 offset:4
	buffer_store_dword v12, off, s[0:3], 0 offset:8
	;; [unrolled: 1-line block ×7, first 2 shown]
	s_and_saveexec_b64 s[4:5], s[16:17]
	s_cbranch_execz .LBB3_32
; %bb.31:
	buffer_load_dword v0, off, s[0:3], 0 offset:768 ; 4-byte Folded Reload
	buffer_load_dword v1, off, s[0:3], 0 offset:772 ; 4-byte Folded Reload
	v_mov_b32_e32 v5, 0
	v_mov_b32_e32 v3, s21
	v_mul_f32_e32 v2, 0.5, v40
	s_waitcnt vmcnt(1)
	v_mov_b32_e32 v4, v0
	s_waitcnt vmcnt(0)
	v_lshlrev_b64 v[0:1], 2, v[4:5]
	v_add_u32_e32 v4, s30, v4
	v_add_co_u32_e32 v0, vcc, s20, v0
	v_addc_co_u32_e32 v1, vcc, v3, v1, vcc
	global_store_dword v[0:1], v2, off
	v_lshlrev_b64 v[0:1], 2, v[4:5]
	v_mul_f32_e32 v2, 0.5, v26
	v_add_co_u32_e32 v0, vcc, s20, v0
	v_addc_co_u32_e32 v1, vcc, v3, v1, vcc
	v_add_u32_e32 v4, s30, v4
	global_store_dword v[0:1], v2, off
	v_lshlrev_b64 v[0:1], 2, v[4:5]
	v_mul_f32_e32 v2, 0.5, v12
	v_add_co_u32_e32 v0, vcc, s20, v0
	v_addc_co_u32_e32 v1, vcc, v3, v1, vcc
	v_add_u32_e32 v4, s30, v4
	;; [unrolled: 6-line block ×6, first 2 shown]
	global_store_dword v[0:1], v2, off
	v_lshlrev_b64 v[0:1], 2, v[4:5]
	v_mul_f32_e32 v2, 0.5, v41
	v_add_co_u32_e32 v0, vcc, s20, v0
	v_addc_co_u32_e32 v1, vcc, v3, v1, vcc
	global_store_dword v[0:1], v2, off
.LBB3_32:
	s_endpgm
	.section	.rodata,"a",@progbits
	.p2align	6, 0x0
	.amdhsa_kernel _ZL11fasten_mainILm8EEviiPK4AtomS2_PKfS4_S4_S4_S4_S4_PfPK8FFParamsi
		.amdhsa_group_segment_fixed_size 0
		.amdhsa_private_segment_fixed_size 784
		.amdhsa_kernarg_size 352
		.amdhsa_user_sgpr_count 6
		.amdhsa_user_sgpr_private_segment_buffer 1
		.amdhsa_user_sgpr_dispatch_ptr 0
		.amdhsa_user_sgpr_queue_ptr 0
		.amdhsa_user_sgpr_kernarg_segment_ptr 1
		.amdhsa_user_sgpr_dispatch_id 0
		.amdhsa_user_sgpr_flat_scratch_init 0
		.amdhsa_user_sgpr_private_segment_size 0
		.amdhsa_uses_dynamic_stack 0
		.amdhsa_system_sgpr_private_segment_wavefront_offset 1
		.amdhsa_system_sgpr_workgroup_id_x 1
		.amdhsa_system_sgpr_workgroup_id_y 0
		.amdhsa_system_sgpr_workgroup_id_z 0
		.amdhsa_system_sgpr_workgroup_info 0
		.amdhsa_system_vgpr_workitem_id 0
		.amdhsa_next_free_vgpr 64
		.amdhsa_next_free_sgpr 52
		.amdhsa_reserve_vcc 1
		.amdhsa_reserve_flat_scratch 0
		.amdhsa_float_round_mode_32 0
		.amdhsa_float_round_mode_16_64 0
		.amdhsa_float_denorm_mode_32 3
		.amdhsa_float_denorm_mode_16_64 3
		.amdhsa_dx10_clamp 1
		.amdhsa_ieee_mode 1
		.amdhsa_fp16_overflow 0
		.amdhsa_exception_fp_ieee_invalid_op 0
		.amdhsa_exception_fp_denorm_src 0
		.amdhsa_exception_fp_ieee_div_zero 0
		.amdhsa_exception_fp_ieee_overflow 0
		.amdhsa_exception_fp_ieee_underflow 0
		.amdhsa_exception_fp_ieee_inexact 0
		.amdhsa_exception_int_div_zero 0
	.end_amdhsa_kernel
	.section	.text._ZL11fasten_mainILm8EEviiPK4AtomS2_PKfS4_S4_S4_S4_S4_PfPK8FFParamsi,"axG",@progbits,_ZL11fasten_mainILm8EEviiPK4AtomS2_PKfS4_S4_S4_S4_S4_PfPK8FFParamsi,comdat
.Lfunc_end3:
	.size	_ZL11fasten_mainILm8EEviiPK4AtomS2_PKfS4_S4_S4_S4_S4_PfPK8FFParamsi, .Lfunc_end3-_ZL11fasten_mainILm8EEviiPK4AtomS2_PKfS4_S4_S4_S4_S4_PfPK8FFParamsi
                                        ; -- End function
	.set _ZL11fasten_mainILm8EEviiPK4AtomS2_PKfS4_S4_S4_S4_S4_PfPK8FFParamsi.num_vgpr, 64
	.set _ZL11fasten_mainILm8EEviiPK4AtomS2_PKfS4_S4_S4_S4_S4_PfPK8FFParamsi.num_agpr, 0
	.set _ZL11fasten_mainILm8EEviiPK4AtomS2_PKfS4_S4_S4_S4_S4_PfPK8FFParamsi.numbered_sgpr, 52
	.set _ZL11fasten_mainILm8EEviiPK4AtomS2_PKfS4_S4_S4_S4_S4_PfPK8FFParamsi.num_named_barrier, 0
	.set _ZL11fasten_mainILm8EEviiPK4AtomS2_PKfS4_S4_S4_S4_S4_PfPK8FFParamsi.private_seg_size, 784
	.set _ZL11fasten_mainILm8EEviiPK4AtomS2_PKfS4_S4_S4_S4_S4_PfPK8FFParamsi.uses_vcc, 1
	.set _ZL11fasten_mainILm8EEviiPK4AtomS2_PKfS4_S4_S4_S4_S4_PfPK8FFParamsi.uses_flat_scratch, 0
	.set _ZL11fasten_mainILm8EEviiPK4AtomS2_PKfS4_S4_S4_S4_S4_PfPK8FFParamsi.has_dyn_sized_stack, 0
	.set _ZL11fasten_mainILm8EEviiPK4AtomS2_PKfS4_S4_S4_S4_S4_PfPK8FFParamsi.has_recursion, 0
	.set _ZL11fasten_mainILm8EEviiPK4AtomS2_PKfS4_S4_S4_S4_S4_PfPK8FFParamsi.has_indirect_call, 0
	.section	.AMDGPU.csdata,"",@progbits
; Kernel info:
; codeLenInByte = 10988
; TotalNumSgprs: 56
; NumVgprs: 64
; ScratchSize: 784
; MemoryBound: 0
; FloatMode: 240
; IeeeMode: 1
; LDSByteSize: 0 bytes/workgroup (compile time only)
; SGPRBlocks: 6
; VGPRBlocks: 15
; NumSGPRsForWavesPerEU: 56
; NumVGPRsForWavesPerEU: 64
; Occupancy: 4
; WaveLimiterHint : 1
; COMPUTE_PGM_RSRC2:SCRATCH_EN: 1
; COMPUTE_PGM_RSRC2:USER_SGPR: 6
; COMPUTE_PGM_RSRC2:TRAP_HANDLER: 0
; COMPUTE_PGM_RSRC2:TGID_X_EN: 1
; COMPUTE_PGM_RSRC2:TGID_Y_EN: 0
; COMPUTE_PGM_RSRC2:TGID_Z_EN: 0
; COMPUTE_PGM_RSRC2:TIDIG_COMP_CNT: 0
	.section	.text._ZL11fasten_mainILm16EEviiPK4AtomS2_PKfS4_S4_S4_S4_S4_PfPK8FFParamsi,"axG",@progbits,_ZL11fasten_mainILm16EEviiPK4AtomS2_PKfS4_S4_S4_S4_S4_PfPK8FFParamsi,comdat
	.globl	_ZL11fasten_mainILm16EEviiPK4AtomS2_PKfS4_S4_S4_S4_S4_PfPK8FFParamsi ; -- Begin function _ZL11fasten_mainILm16EEviiPK4AtomS2_PKfS4_S4_S4_S4_S4_PfPK8FFParamsi
	.p2align	8
	.type	_ZL11fasten_mainILm16EEviiPK4AtomS2_PKfS4_S4_S4_S4_S4_PfPK8FFParamsi,@function
_ZL11fasten_mainILm16EEviiPK4AtomS2_PKfS4_S4_S4_S4_S4_PfPK8FFParamsi: ; @_ZL11fasten_mainILm16EEviiPK4AtomS2_PKfS4_S4_S4_S4_S4_PfPK8FFParamsi
; %bb.0:
	s_add_u32 s0, s0, s7
	s_load_dword s7, s[4:5], 0x6c
	s_load_dword s8, s[4:5], 0x58
	s_load_dwordx16 s[36:51], s[4:5], 0x8
	s_addc_u32 s1, s1, 0
	s_mov_b32 s19, 0
	s_waitcnt lgkmcnt(0)
	s_and_b32 s30, s7, 0xffff
	s_mul_i32 s6, s6, s30
	v_lshl_add_u32 v2, s6, 4, v0
	v_mov_b32_e32 v1, v2
	v_cmp_gt_i32_e64 s[16:17], s8, v2
	buffer_store_dword v1, off, s[0:3], 0 offset:1692 ; 4-byte Folded Spill
	s_nop 0
	buffer_store_dword v2, off, s[0:3], 0 offset:1696 ; 4-byte Folded Spill
	s_add_i32 s6, s8, -16
	v_mov_b32_e32 v0, s6
	s_lshl_b32 s18, s30, 2
	s_mov_b32 s20, 64
	s_brev_b32 s21, 18
	s_mov_b32 s22, 0xfe5163ab
	v_mov_b32_e32 v3, 0
	s_mov_b32 s23, 0x3c439041
	s_mov_b32 s24, 0xdb629599
	;; [unrolled: 1-line block ×9, first 2 shown]
	v_mov_b32_e32 v4, 0xbe2aaa9d
	v_mov_b32_e32 v5, 0x3d2aabf7
	;; [unrolled: 1-line block ×3, first 2 shown]
	s_movk_i32 s34, 0x1f8
	v_not_b32_e32 v7, 63
	v_not_b32_e32 v8, 31
	v_mov_b32_e32 v9, 0x7fc00000
	v_cndmask_b32_e64 v0, v0, v2, s[16:17]
	v_ashrrev_i32_e32 v1, 31, v0
	v_lshlrev_b64 v[0:1], 2, v[0:1]
	s_branch .LBB4_2
.LBB4_1:                                ;   in Loop: Header=BB4_2 Depth=1
	s_or_b64 exec, exec, s[6:7]
	v_mul_f32_e32 v26, v27, v27
	v_mov_b32_e32 v28, 0x3c0881c4
	v_fmac_f32_e32 v28, 0xb94c1982, v26
	v_fma_f32 v28, v26, v28, v4
	v_mul_f32_e32 v28, v26, v28
	v_fmac_f32_e32 v27, v27, v28
	v_mov_b32_e32 v28, 0xbab64f3b
	v_fmac_f32_e32 v28, 0x37d75334, v26
	v_fma_f32 v28, v26, v28, v5
	v_fma_f32 v28, v26, v28, v6
	v_fma_f32 v26, v26, v28, 1.0
	v_and_b32_e32 v28, 1, v25
	v_lshlrev_b32_e32 v25, 30, v25
	v_cmp_eq_u32_e32 vcc, 0, v28
	v_and_b32_e32 v25, 0x80000000, v25
	v_xor_b32_e32 v23, v23, v22
	v_cndmask_b32_e32 v26, v26, v27, vcc
	v_xor_b32_e32 v23, v23, v25
	v_xor_b32_e32 v23, v23, v26
	v_cmp_class_f32_e64 vcc, v22, s34
	v_cndmask_b32_e32 v22, v9, v23, vcc
	v_mul_f32_e32 v23, v21, v21
	v_mov_b32_e32 v25, 0x3c0881c4
	v_fmac_f32_e32 v25, 0xb94c1982, v23
	v_fma_f32 v25, v23, v25, v4
	v_mul_f32_e32 v25, v23, v25
	v_fmac_f32_e32 v21, v21, v25
	v_mov_b32_e32 v25, 0xbab64f3b
	v_fmac_f32_e32 v25, 0x37d75334, v23
	v_fma_f32 v25, v23, v25, v5
	v_fma_f32 v25, v23, v25, v6
	v_fma_f32 v23, v23, v25, 1.0
	v_and_b32_e32 v25, 1, v20
	v_cmp_eq_u32_e64 s[6:7], 0, v25
	v_lshlrev_b32_e32 v20, 30, v20
	v_cndmask_b32_e64 v21, -v21, v23, s[6:7]
	v_and_b32_e32 v20, 0x80000000, v20
	v_xor_b32_e32 v20, v20, v21
	v_mul_f32_e32 v21, v19, v19
	v_mov_b32_e32 v23, 0x3c0881c4
	v_fmac_f32_e32 v23, 0xb94c1982, v21
	v_fma_f32 v23, v21, v23, v4
	v_mul_f32_e32 v23, v21, v23
	v_fmac_f32_e32 v19, v19, v23
	v_mov_b32_e32 v23, 0xbab64f3b
	v_fmac_f32_e32 v23, 0x37d75334, v21
	v_fma_f32 v23, v21, v23, v5
	v_fma_f32 v23, v21, v23, v6
	v_fma_f32 v21, v21, v23, 1.0
	v_and_b32_e32 v23, 1, v18
	v_lshlrev_b32_e32 v18, 30, v18
	v_cmp_class_f32_e64 s[6:7], v16, s34
	v_cmp_eq_u32_e64 s[8:9], 0, v23
	v_and_b32_e32 v18, 0x80000000, v18
	v_xor_b32_e32 v16, v17, v16
	v_cndmask_b32_e64 v19, v21, v19, s[8:9]
	v_xor_b32_e32 v16, v16, v18
	v_xor_b32_e32 v16, v16, v19
	v_cndmask_b32_e64 v20, v9, v20, s[6:7]
	v_cndmask_b32_e64 v16, v9, v16, s[6:7]
	v_mov_b32_e32 v18, s47
	v_add_co_u32_e64 v17, s[6:7], s46, v0
	v_addc_co_u32_e64 v18, s[6:7], v18, v1, s[6:7]
	v_mul_f32_e32 v19, v15, v15
	global_load_dword v21, v[17:18], off
	v_mov_b32_e32 v17, 0x3c0881c4
	v_fmac_f32_e32 v17, 0xb94c1982, v19
	v_fma_f32 v23, v19, v17, v4
	v_mov_b32_e32 v18, s49
	v_add_co_u32_e64 v17, s[6:7], s48, v0
	v_addc_co_u32_e64 v18, s[6:7], v18, v1, s[6:7]
	global_load_dword v25, v[17:18], off
	v_mov_b32_e32 v18, s51
	v_add_co_u32_e64 v17, s[6:7], s50, v0
	v_addc_co_u32_e64 v18, s[6:7], v18, v1, s[6:7]
	global_load_dword v17, v[17:18], off
	v_mov_b32_e32 v18, 0xbab64f3b
	v_fmac_f32_e32 v18, 0x37d75334, v19
	v_fma_f32 v18, v19, v18, v5
	v_fma_f32 v18, v19, v18, v6
	v_mul_f32_e32 v23, v19, v23
	v_fma_f32 v18, v19, v18, 1.0
	v_and_b32_e32 v19, 1, v14
	v_fmac_f32_e32 v15, v15, v23
	v_cmp_eq_u32_e64 s[6:7], 0, v19
	v_lshlrev_b32_e32 v14, 30, v14
	v_cndmask_b32_e64 v15, -v15, v18, s[6:7]
	v_and_b32_e32 v14, 0x80000000, v14
	v_xor_b32_e32 v14, v14, v15
	v_mul_f32_e32 v15, v13, v13
	v_mov_b32_e32 v18, 0x3c0881c4
	v_fmac_f32_e32 v18, 0xb94c1982, v15
	v_fma_f32 v18, v15, v18, v4
	v_mul_f32_e32 v18, v15, v18
	v_fmac_f32_e32 v13, v13, v18
	v_mov_b32_e32 v18, 0xbab64f3b
	v_fmac_f32_e32 v18, 0x37d75334, v15
	v_fma_f32 v18, v15, v18, v5
	v_fma_f32 v18, v15, v18, v6
	v_fma_f32 v15, v15, v18, 1.0
	v_and_b32_e32 v18, 1, v12
	v_lshlrev_b32_e32 v12, 30, v12
	v_cmp_class_f32_e64 s[6:7], v10, s34
	v_and_b32_e32 v12, 0x80000000, v12
	v_xor_b32_e32 v10, v11, v10
	v_xor_b32_e32 v10, v10, v12
	v_mul_f32_e32 v11, v24, v24
	v_mov_b32_e32 v12, 0x3c0881c4
	v_fmac_f32_e32 v12, 0xb94c1982, v11
	v_fma_f32 v12, v11, v12, v4
	v_mul_f32_e32 v12, v11, v12
	v_fmac_f32_e32 v24, v24, v12
	v_mov_b32_e32 v12, 0xbab64f3b
	v_fmac_f32_e32 v12, 0x37d75334, v11
	v_cmp_eq_u32_e64 s[8:9], 0, v18
	v_fma_f32 v12, v11, v12, v5
	v_cndmask_b32_e64 v13, v15, v13, s[8:9]
	v_fma_f32 v12, v11, v12, v6
	v_xor_b32_e32 v10, v10, v13
	v_fma_f32 v11, v11, v12, 1.0
	v_and_b32_e32 v12, 1, v2
	v_cndmask_b32_e64 v14, v9, v14, s[6:7]
	v_cndmask_b32_e64 v10, v9, v10, s[6:7]
	v_cmp_eq_u32_e64 s[6:7], 0, v12
	v_lshlrev_b32_e32 v2, 30, v2
	v_cndmask_b32_e64 v11, -v24, v11, s[6:7]
	v_and_b32_e32 v2, 0x80000000, v2
	v_xor_b32_e32 v2, v2, v11
	v_cndmask_b32_e32 v2, v9, v2, vcc
	v_mul_f32_e32 v11, v20, v2
	v_mov_b32_e32 v12, s20
	buffer_store_dword v11, v12, s[0:3], 0 offen
	v_mul_f32_e32 v11, v10, v16
	v_mul_f32_e32 v13, v14, v22
	v_fma_f32 v13, v11, v2, -v13
	buffer_store_dword v13, v12, s[0:3], 0 offen offset:4
	v_mul_f32_e32 v13, v14, v16
	v_mul_f32_e32 v15, v13, v2
	v_fmac_f32_e32 v15, v10, v22
	buffer_store_dword v15, v12, s[0:3], 0 offen offset:8
	s_waitcnt vmcnt(5)
	buffer_store_dword v21, v12, s[0:3], 0 offen offset:12
	v_mul_f32_e32 v15, v20, v22
	buffer_store_dword v15, v12, s[0:3], 0 offen offset:16
	v_mul_f32_e32 v15, v14, v2
	v_mul_f32_e32 v2, v10, v2
	v_fmac_f32_e32 v15, v11, v22
	v_fma_f32 v2, v13, v22, -v2
	buffer_store_dword v15, v12, s[0:3], 0 offen offset:20
	buffer_store_dword v2, v12, s[0:3], 0 offen offset:24
	s_waitcnt vmcnt(8)
	buffer_store_dword v25, v12, s[0:3], 0 offen offset:28
	v_xor_b32_e32 v2, 0x80000000, v16
	buffer_store_dword v2, v12, s[0:3], 0 offen offset:32
	v_mul_f32_e32 v2, v10, v20
	buffer_store_dword v2, v12, s[0:3], 0 offen offset:36
	v_mul_f32_e32 v2, v14, v20
	buffer_store_dword v2, v12, s[0:3], 0 offen offset:40
	s_waitcnt vmcnt(11)
	buffer_store_dword v17, v12, s[0:3], 0 offen offset:44
	v_mov_b32_e32 v2, s19
	s_add_i32 s19, s19, 4
	s_add_u32 s40, s40, s18
	s_addc_u32 s41, s41, 0
	s_add_u32 s42, s42, s18
	s_addc_u32 s43, s43, 0
	;; [unrolled: 2-line block ×6, first 2 shown]
	s_add_i32 s20, s20, 48
	s_cmp_lg_u32 s19, 64
	buffer_store_dword v3, v2, s[0:3], 0 offen
	s_cbranch_scc0 .LBB4_26
.LBB4_2:                                ; =>This Inner Loop Header: Depth=1
	v_mov_b32_e32 v2, s41
	v_add_co_u32_e32 v10, vcc, s40, v0
	v_addc_co_u32_e32 v11, vcc, v2, v1, vcc
	global_load_dword v10, v[10:11], off
                                        ; implicit-def: $vgpr13
	s_waitcnt vmcnt(0)
	v_and_b32_e32 v11, 0x7fffffff, v10
	v_lshrrev_b32_e32 v2, 23, v11
	v_and_b32_e32 v12, 0x7fffff, v11
	v_cmp_nlt_f32_e64 s[12:13], |v10|, s21
	v_add_u32_e32 v17, 0xffffff88, v2
	v_or_b32_e32 v16, 0x800000, v12
                                        ; implicit-def: $vgpr12
	s_and_saveexec_b64 s[6:7], s[12:13]
	s_xor_b64 s[14:15], exec, s[6:7]
	s_cbranch_execz .LBB4_4
; %bb.3:                                ;   in Loop: Header=BB4_2 Depth=1
	v_mad_u64_u32 v[12:13], s[6:7], v16, s22, 0
	v_cmp_lt_u32_e32 vcc, 63, v17
	v_mov_b32_e32 v2, v13
	v_mad_u64_u32 v[13:14], s[6:7], v16, s23, v[2:3]
	v_mov_b32_e32 v2, v14
	v_mad_u64_u32 v[14:15], s[6:7], v16, s24, v[2:3]
	;; [unrolled: 2-line block ×3, first 2 shown]
	v_cndmask_b32_e32 v2, 0, v7, vcc
	v_add_u32_e32 v15, v2, v17
	v_mov_b32_e32 v2, v19
	v_mad_u64_u32 v[19:20], s[6:7], v16, s26, v[2:3]
	v_cmp_lt_u32_e64 s[6:7], 31, v15
	v_cndmask_b32_e64 v2, 0, v8, s[6:7]
	v_add_u32_e32 v15, v2, v15
	v_mov_b32_e32 v2, v20
	v_mad_u64_u32 v[20:21], s[8:9], v16, s27, v[2:3]
	v_cmp_lt_u32_e64 s[8:9], 31, v15
	v_cndmask_b32_e64 v2, 0, v8, s[8:9]
	v_add_u32_e32 v15, v2, v15
	v_mov_b32_e32 v2, v21
	v_mad_u64_u32 v[21:22], s[10:11], v16, s28, v[2:3]
	v_cndmask_b32_e32 v2, v19, v14, vcc
	v_cndmask_b32_e32 v23, v20, v18, vcc
	;; [unrolled: 1-line block ×4, first 2 shown]
	v_cndmask_b32_e64 v24, v23, v2, s[6:7]
	v_cndmask_b32_e64 v21, v19, v23, s[6:7]
	;; [unrolled: 1-line block ×3, first 2 shown]
	v_cndmask_b32_e32 v13, v18, v13, vcc
	v_cndmask_b32_e64 v19, v19, v21, s[8:9]
	v_cndmask_b32_e64 v20, v21, v24, s[8:9]
	v_sub_u32_e32 v21, 32, v15
	v_cndmask_b32_e64 v2, v2, v13, s[6:7]
	v_alignbit_b32 v22, v19, v20, v21
	v_cmp_eq_u32_e64 s[10:11], 0, v15
	v_cndmask_b32_e64 v18, v24, v2, s[8:9]
	v_cndmask_b32_e64 v15, v22, v19, s[10:11]
	v_alignbit_b32 v19, v20, v18, v21
	v_cndmask_b32_e32 v12, v14, v12, vcc
	v_cndmask_b32_e64 v19, v19, v20, s[10:11]
	v_bfe_u32 v23, v15, 29, 1
	v_cndmask_b32_e64 v12, v13, v12, s[6:7]
	v_alignbit_b32 v20, v15, v19, 30
	v_sub_u32_e32 v24, 0, v23
	v_cndmask_b32_e64 v2, v2, v12, s[8:9]
	v_xor_b32_e32 v20, v20, v24
	v_alignbit_b32 v12, v18, v2, v21
	v_cndmask_b32_e64 v12, v12, v18, s[10:11]
	v_ffbh_u32_e32 v14, v20
	v_alignbit_b32 v13, v19, v12, 30
	v_min_u32_e32 v14, 32, v14
	v_alignbit_b32 v2, v12, v2, 30
	v_xor_b32_e32 v13, v13, v24
	v_sub_u32_e32 v18, 31, v14
	v_xor_b32_e32 v2, v2, v24
	v_alignbit_b32 v19, v20, v13, v18
	v_alignbit_b32 v2, v13, v2, v18
	;; [unrolled: 1-line block ×3, first 2 shown]
	v_ffbh_u32_e32 v13, v12
	v_min_u32_e32 v13, 32, v13
	v_lshrrev_b32_e32 v22, 29, v15
	v_not_b32_e32 v18, v13
	v_alignbit_b32 v2, v12, v2, v18
	v_lshlrev_b32_e32 v12, 31, v22
	v_or_b32_e32 v18, 0x33000000, v12
	v_add_lshl_u32 v13, v13, v14, 23
	v_lshrrev_b32_e32 v2, 9, v2
	v_sub_u32_e32 v13, v18, v13
	v_or_b32_e32 v12, 0.5, v12
	v_lshlrev_b32_e32 v14, 23, v14
	v_or_b32_e32 v2, v13, v2
	v_lshrrev_b32_e32 v13, 9, v19
	v_sub_u32_e32 v12, v12, v14
	v_or_b32_e32 v12, v13, v12
	v_mul_f32_e32 v13, 0x3fc90fda, v12
	v_fma_f32 v14, v12, s29, -v13
	v_fmac_f32_e32 v14, 0x33a22168, v12
	v_fmac_f32_e32 v14, 0x3fc90fda, v2
	v_lshrrev_b32_e32 v2, 30, v15
	v_add_f32_e32 v13, v13, v14
	v_add_u32_e32 v12, v23, v2
.LBB4_4:                                ;   in Loop: Header=BB4_2 Depth=1
	s_or_saveexec_b64 s[6:7], s[14:15]
	v_mul_f32_e64 v2, |v10|, s31
	v_rndne_f32_e32 v2, v2
	s_xor_b64 exec, exec, s[6:7]
; %bb.5:                                ;   in Loop: Header=BB4_2 Depth=1
	v_cvt_i32_f32_e32 v12, v2
	v_fma_f32 v13, v2, s33, |v10|
	v_fmac_f32_e32 v13, 0xb3a22168, v2
	v_fmac_f32_e32 v13, 0xa7c234c4, v2
; %bb.6:                                ;   in Loop: Header=BB4_2 Depth=1
	s_or_b64 exec, exec, s[6:7]
                                        ; implicit-def: $vgpr14
                                        ; implicit-def: $vgpr15
	s_and_saveexec_b64 s[6:7], s[12:13]
	s_xor_b64 s[12:13], exec, s[6:7]
	s_cbranch_execz .LBB4_8
; %bb.7:                                ;   in Loop: Header=BB4_2 Depth=1
	v_mad_u64_u32 v[14:15], s[6:7], v16, s22, 0
	v_cmp_lt_u32_e32 vcc, 63, v17
	v_mov_b32_e32 v2, v15
	v_mad_u64_u32 v[18:19], s[6:7], v16, s23, v[2:3]
	v_mov_b32_e32 v2, v19
	v_mad_u64_u32 v[19:20], s[6:7], v16, s24, v[2:3]
	;; [unrolled: 2-line block ×3, first 2 shown]
	v_cndmask_b32_e32 v2, 0, v7, vcc
	v_add_u32_e32 v15, v2, v17
	v_mov_b32_e32 v2, v21
	v_mad_u64_u32 v[21:22], s[6:7], v16, s26, v[2:3]
	v_cmp_lt_u32_e64 s[6:7], 31, v15
	v_cndmask_b32_e64 v2, 0, v8, s[6:7]
	v_add_u32_e32 v15, v2, v15
	v_mov_b32_e32 v2, v22
	v_mad_u64_u32 v[22:23], s[8:9], v16, s27, v[2:3]
	v_cmp_lt_u32_e64 s[8:9], 31, v15
	v_cndmask_b32_e64 v2, 0, v8, s[8:9]
	v_add_u32_e32 v17, v2, v15
	v_mov_b32_e32 v2, v23
	v_mad_u64_u32 v[15:16], s[10:11], v16, s28, v[2:3]
	v_cndmask_b32_e32 v2, v21, v19, vcc
	v_cndmask_b32_e32 v23, v22, v20, vcc
	;; [unrolled: 1-line block ×4, first 2 shown]
	v_cndmask_b32_e64 v24, v23, v2, s[6:7]
	v_cndmask_b32_e64 v21, v15, v23, s[6:7]
	;; [unrolled: 1-line block ×5, first 2 shown]
	v_sub_u32_e32 v21, 32, v17
	v_alignbit_b32 v22, v15, v16, v21
	v_cmp_eq_u32_e64 s[10:11], 0, v17
	v_cndmask_b32_e64 v17, v22, v15, s[10:11]
	v_cndmask_b32_e32 v15, v20, v18, vcc
	v_cndmask_b32_e64 v2, v2, v15, s[6:7]
	v_cndmask_b32_e64 v18, v24, v2, s[8:9]
	v_cndmask_b32_e32 v14, v19, v14, vcc
	v_alignbit_b32 v20, v16, v18, v21
	v_cndmask_b32_e64 v14, v15, v14, s[6:7]
	v_cndmask_b32_e64 v16, v20, v16, s[10:11]
	v_bfe_u32 v23, v17, 29, 1
	v_cndmask_b32_e64 v2, v2, v14, s[8:9]
	v_alignbit_b32 v20, v17, v16, 30
	v_sub_u32_e32 v24, 0, v23
	v_alignbit_b32 v14, v18, v2, v21
	v_xor_b32_e32 v20, v20, v24
	v_cndmask_b32_e64 v14, v14, v18, s[10:11]
	v_alignbit_b32 v15, v16, v14, 30
	v_ffbh_u32_e32 v16, v20
	v_min_u32_e32 v16, 32, v16
	v_alignbit_b32 v2, v14, v2, 30
	v_xor_b32_e32 v15, v15, v24
	v_sub_u32_e32 v18, 31, v16
	v_xor_b32_e32 v2, v2, v24
	v_alignbit_b32 v19, v20, v15, v18
	v_alignbit_b32 v2, v15, v2, v18
	;; [unrolled: 1-line block ×3, first 2 shown]
	v_ffbh_u32_e32 v15, v14
	v_min_u32_e32 v15, 32, v15
	v_lshrrev_b32_e32 v22, 29, v17
	v_not_b32_e32 v18, v15
	v_alignbit_b32 v2, v14, v2, v18
	v_lshlrev_b32_e32 v14, 31, v22
	v_or_b32_e32 v18, 0x33000000, v14
	v_add_lshl_u32 v15, v15, v16, 23
	v_lshrrev_b32_e32 v2, 9, v2
	v_sub_u32_e32 v15, v18, v15
	v_or_b32_e32 v14, 0.5, v14
	v_lshlrev_b32_e32 v16, 23, v16
	v_or_b32_e32 v2, v15, v2
	v_lshrrev_b32_e32 v15, 9, v19
	v_sub_u32_e32 v14, v14, v16
	v_or_b32_e32 v14, v15, v14
	v_mul_f32_e32 v15, 0x3fc90fda, v14
	v_fma_f32 v16, v14, s29, -v15
	v_fmac_f32_e32 v16, 0x33a22168, v14
	v_fmac_f32_e32 v16, 0x3fc90fda, v2
	v_lshrrev_b32_e32 v2, 30, v17
	v_add_f32_e32 v15, v15, v16
	v_add_u32_e32 v14, v23, v2
                                        ; implicit-def: $vgpr2
	s_andn2_saveexec_b64 s[6:7], s[12:13]
	s_cbranch_execnz .LBB4_9
	s_branch .LBB4_10
.LBB4_8:                                ;   in Loop: Header=BB4_2 Depth=1
	s_andn2_saveexec_b64 s[6:7], s[12:13]
.LBB4_9:                                ;   in Loop: Header=BB4_2 Depth=1
	v_cvt_i32_f32_e32 v14, v2
	v_fma_f32 v15, v2, s33, |v10|
	v_fmac_f32_e32 v15, 0xb3a22168, v2
	v_fmac_f32_e32 v15, 0xa7c234c4, v2
.LBB4_10:                               ;   in Loop: Header=BB4_2 Depth=1
	s_or_b64 exec, exec, s[6:7]
	v_mov_b32_e32 v2, s43
	v_add_co_u32_e32 v16, vcc, s42, v0
	v_addc_co_u32_e32 v17, vcc, v2, v1, vcc
	global_load_dword v16, v[16:17], off
                                        ; implicit-def: $vgpr19
	s_waitcnt vmcnt(0)
	v_and_b32_e32 v17, 0x7fffffff, v16
	v_lshrrev_b32_e32 v2, 23, v17
	v_and_b32_e32 v18, 0x7fffff, v17
	v_cmp_nlt_f32_e64 s[12:13], |v16|, s21
	v_add_u32_e32 v23, 0xffffff88, v2
	v_or_b32_e32 v22, 0x800000, v18
                                        ; implicit-def: $vgpr18
	s_and_saveexec_b64 s[6:7], s[12:13]
	s_xor_b64 s[14:15], exec, s[6:7]
	s_cbranch_execz .LBB4_12
; %bb.11:                               ;   in Loop: Header=BB4_2 Depth=1
	v_mad_u64_u32 v[18:19], s[6:7], v22, s22, 0
	v_cmp_lt_u32_e32 vcc, 63, v23
	v_mov_b32_e32 v2, v19
	v_mad_u64_u32 v[19:20], s[6:7], v22, s23, v[2:3]
	v_mov_b32_e32 v2, v20
	v_mad_u64_u32 v[20:21], s[6:7], v22, s24, v[2:3]
	v_mov_b32_e32 v2, v21
	v_mad_u64_u32 v[24:25], s[6:7], v22, s25, v[2:3]
	v_cndmask_b32_e32 v2, 0, v7, vcc
	v_add_u32_e32 v21, v2, v23
	v_mov_b32_e32 v2, v25
	v_mad_u64_u32 v[25:26], s[6:7], v22, s26, v[2:3]
	v_cmp_lt_u32_e64 s[6:7], 31, v21
	v_cndmask_b32_e64 v2, 0, v8, s[6:7]
	v_add_u32_e32 v21, v2, v21
	v_mov_b32_e32 v2, v26
	v_mad_u64_u32 v[26:27], s[8:9], v22, s27, v[2:3]
	v_cmp_lt_u32_e64 s[8:9], 31, v21
	v_cndmask_b32_e64 v2, 0, v8, s[8:9]
	v_add_u32_e32 v21, v2, v21
	v_mov_b32_e32 v2, v27
	v_mad_u64_u32 v[27:28], s[10:11], v22, s28, v[2:3]
	v_cndmask_b32_e32 v2, v25, v20, vcc
	v_cndmask_b32_e32 v29, v26, v24, vcc
	;; [unrolled: 1-line block ×4, first 2 shown]
	v_cndmask_b32_e64 v30, v29, v2, s[6:7]
	v_cndmask_b32_e64 v27, v25, v29, s[6:7]
	;; [unrolled: 1-line block ×3, first 2 shown]
	v_cndmask_b32_e32 v19, v24, v19, vcc
	v_cndmask_b32_e64 v25, v25, v27, s[8:9]
	v_cndmask_b32_e64 v26, v27, v30, s[8:9]
	v_sub_u32_e32 v27, 32, v21
	v_cndmask_b32_e64 v2, v2, v19, s[6:7]
	v_alignbit_b32 v28, v25, v26, v27
	v_cmp_eq_u32_e64 s[10:11], 0, v21
	v_cndmask_b32_e64 v24, v30, v2, s[8:9]
	v_cndmask_b32_e64 v21, v28, v25, s[10:11]
	v_alignbit_b32 v25, v26, v24, v27
	v_cndmask_b32_e32 v18, v20, v18, vcc
	v_cndmask_b32_e64 v25, v25, v26, s[10:11]
	v_bfe_u32 v29, v21, 29, 1
	v_cndmask_b32_e64 v18, v19, v18, s[6:7]
	v_alignbit_b32 v26, v21, v25, 30
	v_sub_u32_e32 v30, 0, v29
	v_cndmask_b32_e64 v2, v2, v18, s[8:9]
	v_xor_b32_e32 v26, v26, v30
	v_alignbit_b32 v18, v24, v2, v27
	v_cndmask_b32_e64 v18, v18, v24, s[10:11]
	v_ffbh_u32_e32 v20, v26
	v_alignbit_b32 v19, v25, v18, 30
	v_min_u32_e32 v20, 32, v20
	v_alignbit_b32 v2, v18, v2, 30
	v_xor_b32_e32 v19, v19, v30
	v_sub_u32_e32 v24, 31, v20
	v_xor_b32_e32 v2, v2, v30
	v_alignbit_b32 v25, v26, v19, v24
	v_alignbit_b32 v2, v19, v2, v24
	;; [unrolled: 1-line block ×3, first 2 shown]
	v_ffbh_u32_e32 v19, v18
	v_min_u32_e32 v19, 32, v19
	v_lshrrev_b32_e32 v28, 29, v21
	v_not_b32_e32 v24, v19
	v_alignbit_b32 v2, v18, v2, v24
	v_lshlrev_b32_e32 v18, 31, v28
	v_or_b32_e32 v24, 0x33000000, v18
	v_add_lshl_u32 v19, v19, v20, 23
	v_lshrrev_b32_e32 v2, 9, v2
	v_sub_u32_e32 v19, v24, v19
	v_or_b32_e32 v18, 0.5, v18
	v_lshlrev_b32_e32 v20, 23, v20
	v_or_b32_e32 v2, v19, v2
	v_lshrrev_b32_e32 v19, 9, v25
	v_sub_u32_e32 v18, v18, v20
	v_or_b32_e32 v18, v19, v18
	v_mul_f32_e32 v19, 0x3fc90fda, v18
	v_fma_f32 v20, v18, s29, -v19
	v_fmac_f32_e32 v20, 0x33a22168, v18
	v_fmac_f32_e32 v20, 0x3fc90fda, v2
	v_lshrrev_b32_e32 v2, 30, v21
	v_add_f32_e32 v19, v19, v20
	v_add_u32_e32 v18, v29, v2
.LBB4_12:                               ;   in Loop: Header=BB4_2 Depth=1
	s_or_saveexec_b64 s[6:7], s[14:15]
	v_mul_f32_e64 v2, |v16|, s31
	v_rndne_f32_e32 v2, v2
	s_xor_b64 exec, exec, s[6:7]
; %bb.13:                               ;   in Loop: Header=BB4_2 Depth=1
	v_cvt_i32_f32_e32 v18, v2
	v_fma_f32 v19, v2, s33, |v16|
	v_fmac_f32_e32 v19, 0xb3a22168, v2
	v_fmac_f32_e32 v19, 0xa7c234c4, v2
; %bb.14:                               ;   in Loop: Header=BB4_2 Depth=1
	s_or_b64 exec, exec, s[6:7]
                                        ; implicit-def: $vgpr20
                                        ; implicit-def: $vgpr21
	s_and_saveexec_b64 s[6:7], s[12:13]
	s_xor_b64 s[12:13], exec, s[6:7]
	s_cbranch_execz .LBB4_16
; %bb.15:                               ;   in Loop: Header=BB4_2 Depth=1
	v_mad_u64_u32 v[20:21], s[6:7], v22, s22, 0
	v_cmp_lt_u32_e32 vcc, 63, v23
	v_mov_b32_e32 v2, v21
	v_mad_u64_u32 v[24:25], s[6:7], v22, s23, v[2:3]
	v_mov_b32_e32 v2, v25
	v_mad_u64_u32 v[25:26], s[6:7], v22, s24, v[2:3]
	;; [unrolled: 2-line block ×3, first 2 shown]
	v_cndmask_b32_e32 v2, 0, v7, vcc
	v_add_u32_e32 v21, v2, v23
	v_mov_b32_e32 v2, v27
	v_mad_u64_u32 v[27:28], s[6:7], v22, s26, v[2:3]
	v_cmp_lt_u32_e64 s[6:7], 31, v21
	v_cndmask_b32_e64 v2, 0, v8, s[6:7]
	v_add_u32_e32 v21, v2, v21
	v_mov_b32_e32 v2, v28
	v_mad_u64_u32 v[28:29], s[8:9], v22, s27, v[2:3]
	v_cmp_lt_u32_e64 s[8:9], 31, v21
	v_cndmask_b32_e64 v2, 0, v8, s[8:9]
	v_add_u32_e32 v23, v2, v21
	v_mov_b32_e32 v2, v29
	v_mad_u64_u32 v[21:22], s[10:11], v22, s28, v[2:3]
	v_cndmask_b32_e32 v2, v27, v25, vcc
	v_cndmask_b32_e32 v29, v28, v26, vcc
	;; [unrolled: 1-line block ×4, first 2 shown]
	v_cndmask_b32_e64 v30, v29, v2, s[6:7]
	v_cndmask_b32_e64 v27, v21, v29, s[6:7]
	;; [unrolled: 1-line block ×5, first 2 shown]
	v_sub_u32_e32 v27, 32, v23
	v_alignbit_b32 v28, v21, v22, v27
	v_cmp_eq_u32_e64 s[10:11], 0, v23
	v_cndmask_b32_e64 v23, v28, v21, s[10:11]
	v_cndmask_b32_e32 v21, v26, v24, vcc
	v_cndmask_b32_e64 v2, v2, v21, s[6:7]
	v_cndmask_b32_e64 v24, v30, v2, s[8:9]
	v_cndmask_b32_e32 v20, v25, v20, vcc
	v_alignbit_b32 v26, v22, v24, v27
	v_cndmask_b32_e64 v20, v21, v20, s[6:7]
	v_cndmask_b32_e64 v22, v26, v22, s[10:11]
	v_bfe_u32 v29, v23, 29, 1
	v_cndmask_b32_e64 v2, v2, v20, s[8:9]
	v_alignbit_b32 v26, v23, v22, 30
	v_sub_u32_e32 v30, 0, v29
	v_alignbit_b32 v20, v24, v2, v27
	v_xor_b32_e32 v26, v26, v30
	v_cndmask_b32_e64 v20, v20, v24, s[10:11]
	v_alignbit_b32 v21, v22, v20, 30
	v_ffbh_u32_e32 v22, v26
	v_min_u32_e32 v22, 32, v22
	v_alignbit_b32 v2, v20, v2, 30
	v_xor_b32_e32 v21, v21, v30
	v_sub_u32_e32 v24, 31, v22
	v_xor_b32_e32 v2, v2, v30
	v_alignbit_b32 v25, v26, v21, v24
	v_alignbit_b32 v2, v21, v2, v24
	;; [unrolled: 1-line block ×3, first 2 shown]
	v_ffbh_u32_e32 v21, v20
	v_min_u32_e32 v21, 32, v21
	v_lshrrev_b32_e32 v28, 29, v23
	v_not_b32_e32 v24, v21
	v_alignbit_b32 v2, v20, v2, v24
	v_lshlrev_b32_e32 v20, 31, v28
	v_or_b32_e32 v24, 0x33000000, v20
	v_add_lshl_u32 v21, v21, v22, 23
	v_lshrrev_b32_e32 v2, 9, v2
	v_sub_u32_e32 v21, v24, v21
	v_or_b32_e32 v20, 0.5, v20
	v_lshlrev_b32_e32 v22, 23, v22
	v_or_b32_e32 v2, v21, v2
	v_lshrrev_b32_e32 v21, 9, v25
	v_sub_u32_e32 v20, v20, v22
	v_or_b32_e32 v20, v21, v20
	v_mul_f32_e32 v21, 0x3fc90fda, v20
	v_fma_f32 v22, v20, s29, -v21
	v_fmac_f32_e32 v22, 0x33a22168, v20
	v_fmac_f32_e32 v22, 0x3fc90fda, v2
	v_lshrrev_b32_e32 v2, 30, v23
	v_add_f32_e32 v21, v21, v22
	v_add_u32_e32 v20, v29, v2
                                        ; implicit-def: $vgpr2
	s_andn2_saveexec_b64 s[6:7], s[12:13]
	s_cbranch_execnz .LBB4_17
	s_branch .LBB4_18
.LBB4_16:                               ;   in Loop: Header=BB4_2 Depth=1
	s_andn2_saveexec_b64 s[6:7], s[12:13]
.LBB4_17:                               ;   in Loop: Header=BB4_2 Depth=1
	v_cvt_i32_f32_e32 v20, v2
	v_fma_f32 v21, v2, s33, |v16|
	v_fmac_f32_e32 v21, 0xb3a22168, v2
	v_fmac_f32_e32 v21, 0xa7c234c4, v2
.LBB4_18:                               ;   in Loop: Header=BB4_2 Depth=1
	s_or_b64 exec, exec, s[6:7]
	v_mov_b32_e32 v2, s45
	v_add_co_u32_e32 v22, vcc, s44, v0
	v_addc_co_u32_e32 v23, vcc, v2, v1, vcc
	global_load_dword v22, v[22:23], off
                                        ; implicit-def: $vgpr25
                                        ; implicit-def: $vgpr27
	s_waitcnt vmcnt(0)
	v_and_b32_e32 v23, 0x7fffffff, v22
	v_lshrrev_b32_e32 v2, 23, v23
	v_and_b32_e32 v24, 0x7fffff, v23
	v_cmp_nlt_f32_e64 s[12:13], |v22|, s21
	v_add_u32_e32 v28, 0xffffff88, v2
	v_or_b32_e32 v26, 0x800000, v24
	s_and_saveexec_b64 s[6:7], s[12:13]
	s_xor_b64 s[14:15], exec, s[6:7]
	s_cbranch_execz .LBB4_20
; %bb.19:                               ;   in Loop: Header=BB4_2 Depth=1
	v_mad_u64_u32 v[24:25], s[6:7], v26, s22, 0
	v_cmp_lt_u32_e32 vcc, 63, v28
	v_mov_b32_e32 v2, v25
	v_mad_u64_u32 v[29:30], s[6:7], v26, s23, v[2:3]
	v_mov_b32_e32 v2, v30
	v_mad_u64_u32 v[30:31], s[6:7], v26, s24, v[2:3]
	;; [unrolled: 2-line block ×3, first 2 shown]
	v_cndmask_b32_e32 v2, 0, v7, vcc
	v_add_u32_e32 v25, v2, v28
	v_mov_b32_e32 v2, v32
	v_mad_u64_u32 v[32:33], s[6:7], v26, s26, v[2:3]
	v_cmp_lt_u32_e64 s[6:7], 31, v25
	v_cndmask_b32_e64 v2, 0, v8, s[6:7]
	v_add_u32_e32 v25, v2, v25
	v_mov_b32_e32 v2, v33
	v_mad_u64_u32 v[33:34], s[8:9], v26, s27, v[2:3]
	v_cmp_lt_u32_e64 s[8:9], 31, v25
	v_cndmask_b32_e64 v2, 0, v8, s[8:9]
	v_add_u32_e32 v25, v2, v25
	v_mov_b32_e32 v2, v34
	v_mad_u64_u32 v[34:35], s[10:11], v26, s28, v[2:3]
	v_cndmask_b32_e32 v2, v32, v30, vcc
	v_cndmask_b32_e32 v27, v33, v31, vcc
	;; [unrolled: 1-line block ×4, first 2 shown]
	v_cndmask_b32_e64 v36, v27, v2, s[6:7]
	v_cndmask_b32_e64 v27, v32, v27, s[6:7]
	;; [unrolled: 1-line block ×3, first 2 shown]
	v_cndmask_b32_e32 v29, v31, v29, vcc
	v_cndmask_b32_e64 v32, v32, v27, s[8:9]
	v_cndmask_b32_e64 v27, v27, v36, s[8:9]
	v_sub_u32_e32 v33, 32, v25
	v_cndmask_b32_e64 v2, v2, v29, s[6:7]
	v_alignbit_b32 v34, v32, v27, v33
	v_cmp_eq_u32_e64 s[10:11], 0, v25
	v_cndmask_b32_e64 v31, v36, v2, s[8:9]
	v_cndmask_b32_e64 v25, v34, v32, s[10:11]
	v_alignbit_b32 v32, v27, v31, v33
	v_cndmask_b32_e32 v24, v30, v24, vcc
	v_cndmask_b32_e64 v27, v32, v27, s[10:11]
	v_bfe_u32 v35, v25, 29, 1
	v_cndmask_b32_e64 v24, v29, v24, s[6:7]
	v_alignbit_b32 v32, v25, v27, 30
	v_sub_u32_e32 v36, 0, v35
	v_cndmask_b32_e64 v2, v2, v24, s[8:9]
	v_xor_b32_e32 v32, v32, v36
	v_alignbit_b32 v24, v31, v2, v33
	v_cndmask_b32_e64 v24, v24, v31, s[10:11]
	v_ffbh_u32_e32 v29, v32
	v_alignbit_b32 v27, v27, v24, 30
	v_min_u32_e32 v29, 32, v29
	v_alignbit_b32 v2, v24, v2, 30
	v_xor_b32_e32 v27, v27, v36
	v_sub_u32_e32 v30, 31, v29
	v_xor_b32_e32 v2, v2, v36
	v_alignbit_b32 v31, v32, v27, v30
	v_alignbit_b32 v2, v27, v2, v30
	;; [unrolled: 1-line block ×3, first 2 shown]
	v_ffbh_u32_e32 v27, v24
	v_min_u32_e32 v27, 32, v27
	v_lshrrev_b32_e32 v34, 29, v25
	v_not_b32_e32 v30, v27
	v_alignbit_b32 v2, v24, v2, v30
	v_lshlrev_b32_e32 v24, 31, v34
	v_or_b32_e32 v30, 0x33000000, v24
	v_add_lshl_u32 v27, v27, v29, 23
	v_lshrrev_b32_e32 v2, 9, v2
	v_sub_u32_e32 v27, v30, v27
	v_or_b32_e32 v24, 0.5, v24
	v_lshlrev_b32_e32 v29, 23, v29
	v_or_b32_e32 v2, v27, v2
	v_lshrrev_b32_e32 v27, 9, v31
	v_sub_u32_e32 v24, v24, v29
	v_or_b32_e32 v24, v27, v24
	v_mul_f32_e32 v27, 0x3fc90fda, v24
	v_fma_f32 v29, v24, s29, -v27
	v_fmac_f32_e32 v29, 0x33a22168, v24
	v_fmac_f32_e32 v29, 0x3fc90fda, v2
	v_lshrrev_b32_e32 v2, 30, v25
	v_add_f32_e32 v27, v27, v29
	v_add_u32_e32 v25, v35, v2
.LBB4_20:                               ;   in Loop: Header=BB4_2 Depth=1
	s_or_saveexec_b64 s[6:7], s[14:15]
	v_mul_f32_e64 v2, |v22|, s31
	v_rndne_f32_e32 v29, v2
	s_xor_b64 exec, exec, s[6:7]
; %bb.21:                               ;   in Loop: Header=BB4_2 Depth=1
	v_cvt_i32_f32_e32 v25, v29
	v_fma_f32 v27, v29, s33, |v22|
	v_fmac_f32_e32 v27, 0xb3a22168, v29
	v_fmac_f32_e32 v27, 0xa7c234c4, v29
; %bb.22:                               ;   in Loop: Header=BB4_2 Depth=1
	s_or_b64 exec, exec, s[6:7]
                                        ; implicit-def: $vgpr2
                                        ; implicit-def: $vgpr24
	s_and_saveexec_b64 s[6:7], s[12:13]
	s_xor_b64 s[12:13], exec, s[6:7]
	s_cbranch_execz .LBB4_24
; %bb.23:                               ;   in Loop: Header=BB4_2 Depth=1
	v_mad_u64_u32 v[29:30], s[6:7], v26, s22, 0
	v_cmp_lt_u32_e32 vcc, 63, v28
	v_mov_b32_e32 v2, v30
	v_mad_u64_u32 v[30:31], s[6:7], v26, s23, v[2:3]
	v_mov_b32_e32 v2, v31
	v_mad_u64_u32 v[31:32], s[6:7], v26, s24, v[2:3]
	;; [unrolled: 2-line block ×3, first 2 shown]
	v_cndmask_b32_e32 v2, 0, v7, vcc
	v_add_u32_e32 v24, v2, v28
	v_mov_b32_e32 v2, v33
	v_mad_u64_u32 v[33:34], s[6:7], v26, s26, v[2:3]
	v_cmp_lt_u32_e64 s[6:7], 31, v24
	v_cndmask_b32_e64 v2, 0, v8, s[6:7]
	v_add_u32_e32 v24, v2, v24
	v_mov_b32_e32 v2, v34
	v_mad_u64_u32 v[34:35], s[8:9], v26, s27, v[2:3]
	v_cmp_lt_u32_e64 s[8:9], 31, v24
	v_cndmask_b32_e64 v2, 0, v8, s[8:9]
	v_add_u32_e32 v24, v2, v24
	v_mov_b32_e32 v2, v35
	v_mad_u64_u32 v[35:36], s[10:11], v26, s28, v[2:3]
	v_cndmask_b32_e32 v2, v33, v31, vcc
	v_cndmask_b32_e32 v26, v34, v32, vcc
	;; [unrolled: 1-line block ×4, first 2 shown]
	v_cndmask_b32_e64 v28, v26, v2, s[6:7]
	v_cndmask_b32_e64 v26, v33, v26, s[6:7]
	;; [unrolled: 1-line block ×3, first 2 shown]
	v_sub_u32_e32 v34, 32, v24
	v_cmp_eq_u32_e64 s[10:11], 0, v24
	v_cndmask_b32_e32 v24, v32, v30, vcc
	v_cndmask_b32_e64 v33, v33, v26, s[8:9]
	v_cndmask_b32_e64 v26, v26, v28, s[8:9]
	;; [unrolled: 1-line block ×3, first 2 shown]
	v_alignbit_b32 v35, v33, v26, v34
	v_cndmask_b32_e64 v28, v28, v2, s[8:9]
	v_cndmask_b32_e64 v33, v35, v33, s[10:11]
	v_alignbit_b32 v30, v26, v28, v34
	v_cndmask_b32_e32 v29, v31, v29, vcc
	v_cndmask_b32_e64 v26, v30, v26, s[10:11]
	v_bfe_u32 v35, v33, 29, 1
	v_cndmask_b32_e64 v24, v24, v29, s[6:7]
	v_alignbit_b32 v30, v33, v26, 30
	v_sub_u32_e32 v36, 0, v35
	v_cndmask_b32_e64 v2, v2, v24, s[8:9]
	v_xor_b32_e32 v30, v30, v36
	v_alignbit_b32 v24, v28, v2, v34
	v_cndmask_b32_e64 v24, v24, v28, s[10:11]
	v_ffbh_u32_e32 v28, v30
	v_alignbit_b32 v26, v26, v24, 30
	v_min_u32_e32 v28, 32, v28
	v_alignbit_b32 v2, v24, v2, 30
	v_xor_b32_e32 v26, v26, v36
	v_sub_u32_e32 v29, 31, v28
	v_xor_b32_e32 v2, v2, v36
	v_alignbit_b32 v30, v30, v26, v29
	v_alignbit_b32 v2, v26, v2, v29
	;; [unrolled: 1-line block ×3, first 2 shown]
	v_ffbh_u32_e32 v26, v24
	v_min_u32_e32 v26, 32, v26
	v_lshrrev_b32_e32 v32, 29, v33
	v_not_b32_e32 v29, v26
	v_alignbit_b32 v2, v24, v2, v29
	v_lshlrev_b32_e32 v24, 31, v32
	v_or_b32_e32 v29, 0x33000000, v24
	v_add_lshl_u32 v26, v26, v28, 23
	v_lshrrev_b32_e32 v2, 9, v2
	v_sub_u32_e32 v26, v29, v26
	v_or_b32_e32 v24, 0.5, v24
	v_lshlrev_b32_e32 v28, 23, v28
	v_or_b32_e32 v2, v26, v2
	v_lshrrev_b32_e32 v26, 9, v30
	v_sub_u32_e32 v24, v24, v28
	v_or_b32_e32 v24, v26, v24
	v_mul_f32_e32 v26, 0x3fc90fda, v24
	v_fma_f32 v28, v24, s29, -v26
	v_fmac_f32_e32 v28, 0x33a22168, v24
	v_fmac_f32_e32 v28, 0x3fc90fda, v2
	v_lshrrev_b32_e32 v2, 30, v33
	v_add_f32_e32 v24, v26, v28
	v_add_u32_e32 v2, v35, v2
                                        ; implicit-def: $vgpr29
	s_andn2_saveexec_b64 s[6:7], s[12:13]
	s_cbranch_execz .LBB4_1
	s_branch .LBB4_25
.LBB4_24:                               ;   in Loop: Header=BB4_2 Depth=1
	s_andn2_saveexec_b64 s[6:7], s[12:13]
	s_cbranch_execz .LBB4_1
.LBB4_25:                               ;   in Loop: Header=BB4_2 Depth=1
	v_cvt_i32_f32_e32 v2, v29
	v_fma_f32 v24, v29, s33, |v22|
	v_fmac_f32_e32 v24, 0xb3a22168, v29
	v_fmac_f32_e32 v24, 0xa7c234c4, v29
	s_branch .LBB4_1
.LBB4_26:
	s_load_dwordx2 s[6:7], s[4:5], 0x0
	s_load_dwordx4 s[20:23], s[4:5], 0x48
	buffer_load_dword v0, off, s[0:3], 0 offset:140
	s_mov_b32 s25, 0
	s_movk_i32 s34, 0x46
	s_waitcnt lgkmcnt(0)
	s_max_i32 s31, s7, 1
	s_max_i32 s33, s6, 1
	s_add_u32 s18, s36, 8
	s_addc_u32 s19, s37, 0
	s_movk_i32 s35, 0x45
	s_mov_b32 s36, 0xf800000
	s_mov_b32 s24, s25
	v_mov_b32_e32 v6, 0
	v_mov_b32_e32 v55, 0x260
	;; [unrolled: 1-line block ×3, first 2 shown]
	s_waitcnt vmcnt(0)
	buffer_store_dword v0, off, s[0:3], 0 offset:924 ; 4-byte Folded Spill
	buffer_load_dword v0, off, s[0:3], 0 offset:128
	s_waitcnt vmcnt(0)
	buffer_store_dword v0, off, s[0:3], 0 offset:928 ; 4-byte Folded Spill
	buffer_load_dword v0, off, s[0:3], 0 offset:132
	s_waitcnt vmcnt(0)
	buffer_store_dword v0, off, s[0:3], 0 offset:932 ; 4-byte Folded Spill
	buffer_load_dword v0, off, s[0:3], 0 offset:156
	s_waitcnt vmcnt(0)
	buffer_store_dword v0, off, s[0:3], 0 offset:936 ; 4-byte Folded Spill
	buffer_load_dword v0, off, s[0:3], 0 offset:144
	s_waitcnt vmcnt(0)
	buffer_store_dword v0, off, s[0:3], 0 offset:940 ; 4-byte Folded Spill
	buffer_load_dword v0, off, s[0:3], 0 offset:148
	s_waitcnt vmcnt(0)
	buffer_store_dword v0, off, s[0:3], 0 offset:944 ; 4-byte Folded Spill
	buffer_load_dword v0, off, s[0:3], 0 offset:152
	s_waitcnt vmcnt(0)
	buffer_store_dword v0, off, s[0:3], 0 offset:948 ; 4-byte Folded Spill
	buffer_load_dword v0, off, s[0:3], 0 offset:136
	s_waitcnt vmcnt(0)
	buffer_store_dword v0, off, s[0:3], 0 offset:952 ; 4-byte Folded Spill
	buffer_load_dword v0, off, s[0:3], 0 offset:172
	s_waitcnt vmcnt(0)
	buffer_store_dword v0, off, s[0:3], 0 offset:956 ; 4-byte Folded Spill
	buffer_load_dword v0, off, s[0:3], 0 offset:160
	s_waitcnt vmcnt(0)
	buffer_store_dword v0, off, s[0:3], 0 offset:960 ; 4-byte Folded Spill
	buffer_load_dword v0, off, s[0:3], 0 offset:164
	s_waitcnt vmcnt(0)
	buffer_store_dword v0, off, s[0:3], 0 offset:964 ; 4-byte Folded Spill
	buffer_load_dword v0, off, s[0:3], 0 offset:188
	s_waitcnt vmcnt(0)
	buffer_store_dword v0, off, s[0:3], 0 offset:968 ; 4-byte Folded Spill
	buffer_load_dword v0, off, s[0:3], 0 offset:176
	s_waitcnt vmcnt(0)
	buffer_store_dword v0, off, s[0:3], 0 offset:972 ; 4-byte Folded Spill
	buffer_load_dword v0, off, s[0:3], 0 offset:180
	s_waitcnt vmcnt(0)
	buffer_store_dword v0, off, s[0:3], 0 offset:976 ; 4-byte Folded Spill
	buffer_load_dword v0, off, s[0:3], 0 offset:184
	s_waitcnt vmcnt(0)
	buffer_store_dword v0, off, s[0:3], 0 offset:980 ; 4-byte Folded Spill
	buffer_load_dword v0, off, s[0:3], 0 offset:168
	s_waitcnt vmcnt(0)
	buffer_store_dword v0, off, s[0:3], 0 offset:984 ; 4-byte Folded Spill
	buffer_load_dword v0, off, s[0:3], 0 offset:204
	s_waitcnt vmcnt(0)
	buffer_store_dword v0, off, s[0:3], 0 offset:988 ; 4-byte Folded Spill
	buffer_load_dword v0, off, s[0:3], 0 offset:192
	s_waitcnt vmcnt(0)
	buffer_store_dword v0, off, s[0:3], 0 offset:992 ; 4-byte Folded Spill
	buffer_load_dword v0, off, s[0:3], 0 offset:196
	s_waitcnt vmcnt(0)
	buffer_store_dword v0, off, s[0:3], 0 offset:996 ; 4-byte Folded Spill
	buffer_load_dword v0, off, s[0:3], 0 offset:220
	s_waitcnt vmcnt(0)
	buffer_store_dword v0, off, s[0:3], 0 offset:1000 ; 4-byte Folded Spill
	buffer_load_dword v0, off, s[0:3], 0 offset:208
	s_waitcnt vmcnt(0)
	buffer_store_dword v0, off, s[0:3], 0 offset:1004 ; 4-byte Folded Spill
	buffer_load_dword v0, off, s[0:3], 0 offset:212
	s_waitcnt vmcnt(0)
	buffer_store_dword v0, off, s[0:3], 0 offset:1008 ; 4-byte Folded Spill
	buffer_load_dword v0, off, s[0:3], 0 offset:216
	s_waitcnt vmcnt(0)
	buffer_store_dword v0, off, s[0:3], 0 offset:1012 ; 4-byte Folded Spill
	buffer_load_dword v0, off, s[0:3], 0 offset:200
	s_waitcnt vmcnt(0)
	buffer_store_dword v0, off, s[0:3], 0 offset:1016 ; 4-byte Folded Spill
	buffer_load_dword v0, off, s[0:3], 0 offset:236
	s_waitcnt vmcnt(0)
	buffer_store_dword v0, off, s[0:3], 0 offset:1020 ; 4-byte Folded Spill
	buffer_load_dword v0, off, s[0:3], 0 offset:224
	s_waitcnt vmcnt(0)
	buffer_store_dword v0, off, s[0:3], 0 offset:1024 ; 4-byte Folded Spill
	buffer_load_dword v0, off, s[0:3], 0 offset:228
	s_waitcnt vmcnt(0)
	buffer_store_dword v0, off, s[0:3], 0 offset:1028 ; 4-byte Folded Spill
	buffer_load_dword v0, off, s[0:3], 0 offset:252
	s_waitcnt vmcnt(0)
	buffer_store_dword v0, off, s[0:3], 0 offset:1032 ; 4-byte Folded Spill
	buffer_load_dword v0, off, s[0:3], 0 offset:240
	s_waitcnt vmcnt(0)
	buffer_store_dword v0, off, s[0:3], 0 offset:1036 ; 4-byte Folded Spill
	buffer_load_dword v0, off, s[0:3], 0 offset:244
	s_waitcnt vmcnt(0)
	buffer_store_dword v0, off, s[0:3], 0 offset:1040 ; 4-byte Folded Spill
	buffer_load_dword v0, off, s[0:3], 0 offset:248
	s_waitcnt vmcnt(0)
	buffer_store_dword v0, off, s[0:3], 0 offset:1044 ; 4-byte Folded Spill
	buffer_load_dword v0, off, s[0:3], 0 offset:232
	s_waitcnt vmcnt(0)
	buffer_store_dword v0, off, s[0:3], 0 offset:1048 ; 4-byte Folded Spill
	buffer_load_dword v0, off, s[0:3], 0 offset:268
	s_waitcnt vmcnt(0)
	buffer_store_dword v0, off, s[0:3], 0 offset:1052 ; 4-byte Folded Spill
	buffer_load_dword v0, off, s[0:3], 0 offset:256
	s_waitcnt vmcnt(0)
	buffer_store_dword v0, off, s[0:3], 0 offset:1056 ; 4-byte Folded Spill
	buffer_load_dword v0, off, s[0:3], 0 offset:260
	s_waitcnt vmcnt(0)
	buffer_store_dword v0, off, s[0:3], 0 offset:1060 ; 4-byte Folded Spill
	buffer_load_dword v0, off, s[0:3], 0 offset:284
	s_waitcnt vmcnt(0)
	buffer_store_dword v0, off, s[0:3], 0 offset:1064 ; 4-byte Folded Spill
	buffer_load_dword v0, off, s[0:3], 0 offset:272
	s_waitcnt vmcnt(0)
	buffer_store_dword v0, off, s[0:3], 0 offset:1068 ; 4-byte Folded Spill
	buffer_load_dword v0, off, s[0:3], 0 offset:276
	s_waitcnt vmcnt(0)
	buffer_store_dword v0, off, s[0:3], 0 offset:1072 ; 4-byte Folded Spill
	buffer_load_dword v0, off, s[0:3], 0 offset:280
	s_waitcnt vmcnt(0)
	buffer_store_dword v0, off, s[0:3], 0 offset:1076 ; 4-byte Folded Spill
	buffer_load_dword v0, off, s[0:3], 0 offset:264
	s_waitcnt vmcnt(0)
	buffer_store_dword v0, off, s[0:3], 0 offset:1080 ; 4-byte Folded Spill
	buffer_load_dword v0, off, s[0:3], 0 offset:300
	s_waitcnt vmcnt(0)
	buffer_store_dword v0, off, s[0:3], 0 offset:1084 ; 4-byte Folded Spill
	buffer_load_dword v0, off, s[0:3], 0 offset:288
	s_waitcnt vmcnt(0)
	buffer_store_dword v0, off, s[0:3], 0 offset:1088 ; 4-byte Folded Spill
	buffer_load_dword v0, off, s[0:3], 0 offset:292
	s_waitcnt vmcnt(0)
	buffer_store_dword v0, off, s[0:3], 0 offset:1092 ; 4-byte Folded Spill
	buffer_load_dword v0, off, s[0:3], 0 offset:316
	s_waitcnt vmcnt(0)
	buffer_store_dword v0, off, s[0:3], 0 offset:1096 ; 4-byte Folded Spill
	buffer_load_dword v0, off, s[0:3], 0 offset:304
	s_waitcnt vmcnt(0)
	buffer_store_dword v0, off, s[0:3], 0 offset:1100 ; 4-byte Folded Spill
	buffer_load_dword v0, off, s[0:3], 0 offset:308
	s_waitcnt vmcnt(0)
	buffer_store_dword v0, off, s[0:3], 0 offset:1104 ; 4-byte Folded Spill
	buffer_load_dword v0, off, s[0:3], 0 offset:312
	s_waitcnt vmcnt(0)
	buffer_store_dword v0, off, s[0:3], 0 offset:1108 ; 4-byte Folded Spill
	buffer_load_dword v0, off, s[0:3], 0 offset:296
	s_waitcnt vmcnt(0)
	buffer_store_dword v0, off, s[0:3], 0 offset:1112 ; 4-byte Folded Spill
	buffer_load_dword v0, off, s[0:3], 0 offset:332
	s_waitcnt vmcnt(0)
	buffer_store_dword v0, off, s[0:3], 0 offset:1116 ; 4-byte Folded Spill
	buffer_load_dword v0, off, s[0:3], 0 offset:320
	s_waitcnt vmcnt(0)
	buffer_store_dword v0, off, s[0:3], 0 offset:1120 ; 4-byte Folded Spill
	buffer_load_dword v0, off, s[0:3], 0 offset:324
	s_waitcnt vmcnt(0)
	buffer_store_dword v0, off, s[0:3], 0 offset:1124 ; 4-byte Folded Spill
	buffer_load_dword v0, off, s[0:3], 0 offset:348
	s_waitcnt vmcnt(0)
	buffer_store_dword v0, off, s[0:3], 0 offset:1128 ; 4-byte Folded Spill
	buffer_load_dword v0, off, s[0:3], 0 offset:336
	s_waitcnt vmcnt(0)
	buffer_store_dword v0, off, s[0:3], 0 offset:1132 ; 4-byte Folded Spill
	buffer_load_dword v0, off, s[0:3], 0 offset:340
	s_waitcnt vmcnt(0)
	buffer_store_dword v0, off, s[0:3], 0 offset:1136 ; 4-byte Folded Spill
	buffer_load_dword v0, off, s[0:3], 0 offset:344
	s_waitcnt vmcnt(0)
	buffer_store_dword v0, off, s[0:3], 0 offset:1140 ; 4-byte Folded Spill
	buffer_load_dword v0, off, s[0:3], 0 offset:328
	s_waitcnt vmcnt(0)
	buffer_store_dword v0, off, s[0:3], 0 offset:1144 ; 4-byte Folded Spill
	buffer_load_dword v0, off, s[0:3], 0 offset:364
	s_waitcnt vmcnt(0)
	buffer_store_dword v0, off, s[0:3], 0 offset:1148 ; 4-byte Folded Spill
	buffer_load_dword v0, off, s[0:3], 0 offset:352
	s_waitcnt vmcnt(0)
	buffer_store_dword v0, off, s[0:3], 0 offset:1152 ; 4-byte Folded Spill
	buffer_load_dword v0, off, s[0:3], 0 offset:356
	s_waitcnt vmcnt(0)
	buffer_store_dword v0, off, s[0:3], 0 offset:1156 ; 4-byte Folded Spill
	buffer_load_dword v0, off, s[0:3], 0 offset:380
	s_waitcnt vmcnt(0)
	buffer_store_dword v0, off, s[0:3], 0 offset:1160 ; 4-byte Folded Spill
	buffer_load_dword v0, off, s[0:3], 0 offset:368
	s_waitcnt vmcnt(0)
	buffer_store_dword v0, off, s[0:3], 0 offset:1164 ; 4-byte Folded Spill
	buffer_load_dword v0, off, s[0:3], 0 offset:372
	s_waitcnt vmcnt(0)
	buffer_store_dword v0, off, s[0:3], 0 offset:1168 ; 4-byte Folded Spill
	buffer_load_dword v0, off, s[0:3], 0 offset:376
	s_waitcnt vmcnt(0)
	buffer_store_dword v0, off, s[0:3], 0 offset:1172 ; 4-byte Folded Spill
	buffer_load_dword v0, off, s[0:3], 0 offset:360
	s_waitcnt vmcnt(0)
	buffer_store_dword v0, off, s[0:3], 0 offset:1176 ; 4-byte Folded Spill
	buffer_load_dword v0, off, s[0:3], 0 offset:396
	s_waitcnt vmcnt(0)
	buffer_store_dword v0, off, s[0:3], 0 offset:1180 ; 4-byte Folded Spill
	buffer_load_dword v0, off, s[0:3], 0 offset:384
	s_waitcnt vmcnt(0)
	buffer_store_dword v0, off, s[0:3], 0 offset:1184 ; 4-byte Folded Spill
	buffer_load_dword v0, off, s[0:3], 0 offset:388
	s_waitcnt vmcnt(0)
	buffer_store_dword v0, off, s[0:3], 0 offset:1188 ; 4-byte Folded Spill
	buffer_load_dword v0, off, s[0:3], 0 offset:412
	s_waitcnt vmcnt(0)
	buffer_store_dword v0, off, s[0:3], 0 offset:1192 ; 4-byte Folded Spill
	buffer_load_dword v0, off, s[0:3], 0 offset:400
	s_waitcnt vmcnt(0)
	buffer_store_dword v0, off, s[0:3], 0 offset:1196 ; 4-byte Folded Spill
	buffer_load_dword v0, off, s[0:3], 0 offset:404
	s_waitcnt vmcnt(0)
	buffer_store_dword v0, off, s[0:3], 0 offset:1200 ; 4-byte Folded Spill
	buffer_load_dword v0, off, s[0:3], 0 offset:408
	s_waitcnt vmcnt(0)
	buffer_store_dword v0, off, s[0:3], 0 offset:1204 ; 4-byte Folded Spill
	buffer_load_dword v0, off, s[0:3], 0 offset:392
	s_waitcnt vmcnt(0)
	buffer_store_dword v0, off, s[0:3], 0 offset:1208 ; 4-byte Folded Spill
	buffer_load_dword v0, off, s[0:3], 0 offset:428
	s_waitcnt vmcnt(0)
	buffer_store_dword v0, off, s[0:3], 0 offset:1212 ; 4-byte Folded Spill
	buffer_load_dword v0, off, s[0:3], 0 offset:416
	s_waitcnt vmcnt(0)
	buffer_store_dword v0, off, s[0:3], 0 offset:1216 ; 4-byte Folded Spill
	buffer_load_dword v0, off, s[0:3], 0 offset:420
	s_waitcnt vmcnt(0)
	buffer_store_dword v0, off, s[0:3], 0 offset:1220 ; 4-byte Folded Spill
	buffer_load_dword v0, off, s[0:3], 0 offset:444
	s_waitcnt vmcnt(0)
	buffer_store_dword v0, off, s[0:3], 0 offset:1224 ; 4-byte Folded Spill
	buffer_load_dword v0, off, s[0:3], 0 offset:432
	s_waitcnt vmcnt(0)
	buffer_store_dword v0, off, s[0:3], 0 offset:1228 ; 4-byte Folded Spill
	buffer_load_dword v0, off, s[0:3], 0 offset:436
	s_waitcnt vmcnt(0)
	buffer_store_dword v0, off, s[0:3], 0 offset:1232 ; 4-byte Folded Spill
	buffer_load_dword v0, off, s[0:3], 0 offset:440
	s_waitcnt vmcnt(0)
	buffer_store_dword v0, off, s[0:3], 0 offset:1236 ; 4-byte Folded Spill
	buffer_load_dword v0, off, s[0:3], 0 offset:424
	s_waitcnt vmcnt(0)
	buffer_store_dword v0, off, s[0:3], 0 offset:1240 ; 4-byte Folded Spill
	buffer_load_dword v0, off, s[0:3], 0 offset:460
	s_waitcnt vmcnt(0)
	buffer_store_dword v0, off, s[0:3], 0 offset:1244 ; 4-byte Folded Spill
	buffer_load_dword v0, off, s[0:3], 0 offset:448
	s_waitcnt vmcnt(0)
	buffer_store_dword v0, off, s[0:3], 0 offset:1248 ; 4-byte Folded Spill
	buffer_load_dword v0, off, s[0:3], 0 offset:452
	s_waitcnt vmcnt(0)
	buffer_store_dword v0, off, s[0:3], 0 offset:1252 ; 4-byte Folded Spill
	buffer_load_dword v0, off, s[0:3], 0 offset:476
	s_waitcnt vmcnt(0)
	buffer_store_dword v0, off, s[0:3], 0 offset:1256 ; 4-byte Folded Spill
	buffer_load_dword v0, off, s[0:3], 0 offset:464
	s_waitcnt vmcnt(0)
	buffer_store_dword v0, off, s[0:3], 0 offset:1260 ; 4-byte Folded Spill
	buffer_load_dword v0, off, s[0:3], 0 offset:468
	s_waitcnt vmcnt(0)
	buffer_store_dword v0, off, s[0:3], 0 offset:1264 ; 4-byte Folded Spill
	buffer_load_dword v0, off, s[0:3], 0 offset:472
	s_waitcnt vmcnt(0)
	buffer_store_dword v0, off, s[0:3], 0 offset:1268 ; 4-byte Folded Spill
	buffer_load_dword v0, off, s[0:3], 0 offset:456
	s_waitcnt vmcnt(0)
	buffer_store_dword v0, off, s[0:3], 0 offset:1272 ; 4-byte Folded Spill
	buffer_load_dword v0, off, s[0:3], 0 offset:64
	s_waitcnt vmcnt(0)
	buffer_store_dword v0, off, s[0:3], 0 offset:1276 ; 4-byte Folded Spill
	buffer_load_dword v0, off, s[0:3], 0 offset:68
	s_waitcnt vmcnt(0)
	buffer_store_dword v0, off, s[0:3], 0 offset:1280 ; 4-byte Folded Spill
	buffer_load_dword v0, off, s[0:3], 0 offset:72
	s_waitcnt vmcnt(0)
	buffer_store_dword v0, off, s[0:3], 0 offset:1284 ; 4-byte Folded Spill
	buffer_load_dword v0, off, s[0:3], 0 offset:76
	s_waitcnt vmcnt(0)
	buffer_store_dword v0, off, s[0:3], 0 offset:1288 ; 4-byte Folded Spill
	buffer_load_dword v54, off, s[0:3], 0 offset:12
	buffer_load_dword v12, off, s[0:3], 0 offset:8
	buffer_load_dword v26, off, s[0:3], 0 offset:4
	buffer_load_dword v40, off, s[0:3], 0
	s_nop 0
	buffer_load_dword v0, off, s[0:3], 0 offset:80
	s_waitcnt vmcnt(0)
	buffer_store_dword v0, off, s[0:3], 0 offset:1292 ; 4-byte Folded Spill
	buffer_load_dword v0, off, s[0:3], 0 offset:84
	s_waitcnt vmcnt(0)
	buffer_store_dword v0, off, s[0:3], 0 offset:1296 ; 4-byte Folded Spill
	buffer_load_dword v0, off, s[0:3], 0 offset:88
	s_waitcnt vmcnt(0)
	buffer_store_dword v0, off, s[0:3], 0 offset:1300 ; 4-byte Folded Spill
	buffer_load_dword v0, off, s[0:3], 0 offset:92
	s_waitcnt vmcnt(0)
	buffer_store_dword v0, off, s[0:3], 0 offset:1304 ; 4-byte Folded Spill
	buffer_load_dword v49, off, s[0:3], 0 offset:28
	buffer_load_dword v50, off, s[0:3], 0 offset:24
	buffer_load_dword v51, off, s[0:3], 0 offset:20
	buffer_load_dword v52, off, s[0:3], 0 offset:16
	s_nop 0
	buffer_load_dword v0, off, s[0:3], 0 offset:96
	s_waitcnt vmcnt(0)
	buffer_store_dword v0, off, s[0:3], 0 offset:1308 ; 4-byte Folded Spill
	buffer_load_dword v0, off, s[0:3], 0 offset:100
	s_waitcnt vmcnt(0)
	buffer_store_dword v0, off, s[0:3], 0 offset:1312 ; 4-byte Folded Spill
	buffer_load_dword v0, off, s[0:3], 0 offset:104
	s_waitcnt vmcnt(0)
	buffer_store_dword v0, off, s[0:3], 0 offset:1316 ; 4-byte Folded Spill
	buffer_load_dword v0, off, s[0:3], 0 offset:108
	s_waitcnt vmcnt(0)
	buffer_store_dword v0, off, s[0:3], 0 offset:1320 ; 4-byte Folded Spill
	buffer_load_dword v45, off, s[0:3], 0 offset:44
	buffer_load_dword v46, off, s[0:3], 0 offset:40
	buffer_load_dword v47, off, s[0:3], 0 offset:36
	buffer_load_dword v48, off, s[0:3], 0 offset:32
	;; [unrolled: 17-line block ×3, first 2 shown]
	s_nop 0
	buffer_load_dword v0, off, s[0:3], 0 offset:492
	s_waitcnt vmcnt(0)
	buffer_store_dword v0, off, s[0:3], 0 offset:1340 ; 4-byte Folded Spill
	buffer_load_dword v0, off, s[0:3], 0 offset:480
	s_waitcnt vmcnt(0)
	buffer_store_dword v0, off, s[0:3], 0 offset:1344 ; 4-byte Folded Spill
	buffer_load_dword v0, off, s[0:3], 0 offset:484
	s_waitcnt vmcnt(0)
	buffer_store_dword v0, off, s[0:3], 0 offset:1348 ; 4-byte Folded Spill
	buffer_load_dword v0, off, s[0:3], 0 offset:508
	s_waitcnt vmcnt(0)
	buffer_store_dword v0, off, s[0:3], 0 offset:1352 ; 4-byte Folded Spill
	buffer_load_dword v0, off, s[0:3], 0 offset:496
	s_waitcnt vmcnt(0)
	buffer_store_dword v0, off, s[0:3], 0 offset:1356 ; 4-byte Folded Spill
	buffer_load_dword v0, off, s[0:3], 0 offset:500
	s_waitcnt vmcnt(0)
	buffer_store_dword v0, off, s[0:3], 0 offset:1360 ; 4-byte Folded Spill
	buffer_load_dword v0, off, s[0:3], 0 offset:504
	s_waitcnt vmcnt(0)
	buffer_store_dword v0, off, s[0:3], 0 offset:1364 ; 4-byte Folded Spill
	buffer_load_dword v0, off, s[0:3], 0 offset:488
	s_waitcnt vmcnt(0)
	buffer_store_dword v0, off, s[0:3], 0 offset:1368 ; 4-byte Folded Spill
	buffer_load_dword v0, off, s[0:3], 0 offset:524
	s_waitcnt vmcnt(0)
	buffer_store_dword v0, off, s[0:3], 0 offset:1372 ; 4-byte Folded Spill
	buffer_load_dword v0, off, s[0:3], 0 offset:512
	s_waitcnt vmcnt(0)
	buffer_store_dword v0, off, s[0:3], 0 offset:1376 ; 4-byte Folded Spill
	buffer_load_dword v0, off, s[0:3], 0 offset:516
	s_waitcnt vmcnt(0)
	buffer_store_dword v0, off, s[0:3], 0 offset:1380 ; 4-byte Folded Spill
	buffer_load_dword v0, off, s[0:3], 0 offset:540
	s_waitcnt vmcnt(0)
	buffer_store_dword v0, off, s[0:3], 0 offset:1384 ; 4-byte Folded Spill
	buffer_load_dword v0, off, s[0:3], 0 offset:528
	s_waitcnt vmcnt(0)
	buffer_store_dword v0, off, s[0:3], 0 offset:1388 ; 4-byte Folded Spill
	buffer_load_dword v0, off, s[0:3], 0 offset:532
	s_waitcnt vmcnt(0)
	buffer_store_dword v0, off, s[0:3], 0 offset:1392 ; 4-byte Folded Spill
	buffer_load_dword v0, off, s[0:3], 0 offset:536
	s_waitcnt vmcnt(0)
	buffer_store_dword v0, off, s[0:3], 0 offset:1396 ; 4-byte Folded Spill
	buffer_load_dword v0, off, s[0:3], 0 offset:520
	s_waitcnt vmcnt(0)
	buffer_store_dword v0, off, s[0:3], 0 offset:1400 ; 4-byte Folded Spill
	buffer_load_dword v0, off, s[0:3], 0 offset:556
	s_waitcnt vmcnt(0)
	buffer_store_dword v0, off, s[0:3], 0 offset:1404 ; 4-byte Folded Spill
	buffer_load_dword v0, off, s[0:3], 0 offset:544
	s_waitcnt vmcnt(0)
	buffer_store_dword v0, off, s[0:3], 0 offset:1408 ; 4-byte Folded Spill
	buffer_load_dword v0, off, s[0:3], 0 offset:548
	s_waitcnt vmcnt(0)
	buffer_store_dword v0, off, s[0:3], 0 offset:1412 ; 4-byte Folded Spill
	buffer_load_dword v0, off, s[0:3], 0 offset:572
	s_waitcnt vmcnt(0)
	buffer_store_dword v0, off, s[0:3], 0 offset:1416 ; 4-byte Folded Spill
	buffer_load_dword v0, off, s[0:3], 0 offset:560
	s_waitcnt vmcnt(0)
	buffer_store_dword v0, off, s[0:3], 0 offset:1420 ; 4-byte Folded Spill
	buffer_load_dword v0, off, s[0:3], 0 offset:564
	s_waitcnt vmcnt(0)
	buffer_store_dword v0, off, s[0:3], 0 offset:1424 ; 4-byte Folded Spill
	buffer_load_dword v0, off, s[0:3], 0 offset:568
	s_waitcnt vmcnt(0)
	buffer_store_dword v0, off, s[0:3], 0 offset:1428 ; 4-byte Folded Spill
	buffer_load_dword v0, off, s[0:3], 0 offset:552
	s_waitcnt vmcnt(0)
	buffer_store_dword v0, off, s[0:3], 0 offset:1432 ; 4-byte Folded Spill
	buffer_load_dword v0, off, s[0:3], 0 offset:588
	s_waitcnt vmcnt(0)
	buffer_store_dword v0, off, s[0:3], 0 offset:1436 ; 4-byte Folded Spill
	buffer_load_dword v0, off, s[0:3], 0 offset:576
	s_waitcnt vmcnt(0)
	buffer_store_dword v0, off, s[0:3], 0 offset:1440 ; 4-byte Folded Spill
	buffer_load_dword v0, off, s[0:3], 0 offset:580
	s_waitcnt vmcnt(0)
	buffer_store_dword v0, off, s[0:3], 0 offset:1444 ; 4-byte Folded Spill
	buffer_load_dword v0, off, s[0:3], 0 offset:604
	s_waitcnt vmcnt(0)
	buffer_store_dword v0, off, s[0:3], 0 offset:1448 ; 4-byte Folded Spill
	buffer_load_dword v0, off, s[0:3], 0 offset:592
	s_waitcnt vmcnt(0)
	buffer_store_dword v0, off, s[0:3], 0 offset:1452 ; 4-byte Folded Spill
	buffer_load_dword v0, off, s[0:3], 0 offset:596
	s_waitcnt vmcnt(0)
	buffer_store_dword v0, off, s[0:3], 0 offset:1456 ; 4-byte Folded Spill
	buffer_load_dword v0, off, s[0:3], 0 offset:600
	s_waitcnt vmcnt(0)
	buffer_store_dword v0, off, s[0:3], 0 offset:1460 ; 4-byte Folded Spill
	buffer_load_dword v0, off, s[0:3], 0 offset:584
	s_waitcnt vmcnt(0)
	buffer_store_dword v0, off, s[0:3], 0 offset:1464 ; 4-byte Folded Spill
	buffer_load_dword v0, off, s[0:3], 0 offset:620
	s_waitcnt vmcnt(0)
	buffer_store_dword v0, off, s[0:3], 0 offset:1468 ; 4-byte Folded Spill
	buffer_load_dword v0, off, s[0:3], 0 offset:608
	s_waitcnt vmcnt(0)
	buffer_store_dword v0, off, s[0:3], 0 offset:1472 ; 4-byte Folded Spill
	buffer_load_dword v0, off, s[0:3], 0 offset:612
	s_waitcnt vmcnt(0)
	buffer_store_dword v0, off, s[0:3], 0 offset:1476 ; 4-byte Folded Spill
	buffer_load_dword v0, off, s[0:3], 0 offset:636
	s_waitcnt vmcnt(0)
	buffer_store_dword v0, off, s[0:3], 0 offset:1480 ; 4-byte Folded Spill
	buffer_load_dword v0, off, s[0:3], 0 offset:624
	s_waitcnt vmcnt(0)
	buffer_store_dword v0, off, s[0:3], 0 offset:1484 ; 4-byte Folded Spill
	buffer_load_dword v0, off, s[0:3], 0 offset:628
	s_waitcnt vmcnt(0)
	buffer_store_dword v0, off, s[0:3], 0 offset:1488 ; 4-byte Folded Spill
	buffer_load_dword v0, off, s[0:3], 0 offset:632
	s_waitcnt vmcnt(0)
	buffer_store_dword v0, off, s[0:3], 0 offset:1492 ; 4-byte Folded Spill
	buffer_load_dword v0, off, s[0:3], 0 offset:616
	s_waitcnt vmcnt(0)
	buffer_store_dword v0, off, s[0:3], 0 offset:1496 ; 4-byte Folded Spill
	buffer_load_dword v0, off, s[0:3], 0 offset:652
	s_waitcnt vmcnt(0)
	buffer_store_dword v0, off, s[0:3], 0 offset:1500 ; 4-byte Folded Spill
	buffer_load_dword v0, off, s[0:3], 0 offset:640
	s_waitcnt vmcnt(0)
	buffer_store_dword v0, off, s[0:3], 0 offset:1504 ; 4-byte Folded Spill
	buffer_load_dword v0, off, s[0:3], 0 offset:644
	s_waitcnt vmcnt(0)
	buffer_store_dword v0, off, s[0:3], 0 offset:1508 ; 4-byte Folded Spill
	buffer_load_dword v0, off, s[0:3], 0 offset:668
	s_waitcnt vmcnt(0)
	buffer_store_dword v0, off, s[0:3], 0 offset:1512 ; 4-byte Folded Spill
	buffer_load_dword v0, off, s[0:3], 0 offset:656
	s_waitcnt vmcnt(0)
	buffer_store_dword v0, off, s[0:3], 0 offset:1516 ; 4-byte Folded Spill
	buffer_load_dword v0, off, s[0:3], 0 offset:660
	s_waitcnt vmcnt(0)
	buffer_store_dword v0, off, s[0:3], 0 offset:1520 ; 4-byte Folded Spill
	buffer_load_dword v0, off, s[0:3], 0 offset:664
	s_waitcnt vmcnt(0)
	buffer_store_dword v0, off, s[0:3], 0 offset:1524 ; 4-byte Folded Spill
	buffer_load_dword v0, off, s[0:3], 0 offset:648
	s_waitcnt vmcnt(0)
	buffer_store_dword v0, off, s[0:3], 0 offset:1528 ; 4-byte Folded Spill
	buffer_load_dword v0, off, s[0:3], 0 offset:684
	s_waitcnt vmcnt(0)
	buffer_store_dword v0, off, s[0:3], 0 offset:1532 ; 4-byte Folded Spill
	buffer_load_dword v0, off, s[0:3], 0 offset:672
	s_waitcnt vmcnt(0)
	buffer_store_dword v0, off, s[0:3], 0 offset:1536 ; 4-byte Folded Spill
	buffer_load_dword v0, off, s[0:3], 0 offset:676
	s_waitcnt vmcnt(0)
	buffer_store_dword v0, off, s[0:3], 0 offset:1540 ; 4-byte Folded Spill
	buffer_load_dword v0, off, s[0:3], 0 offset:700
	s_waitcnt vmcnt(0)
	buffer_store_dword v0, off, s[0:3], 0 offset:1544 ; 4-byte Folded Spill
	buffer_load_dword v0, off, s[0:3], 0 offset:688
	s_waitcnt vmcnt(0)
	buffer_store_dword v0, off, s[0:3], 0 offset:1548 ; 4-byte Folded Spill
	buffer_load_dword v0, off, s[0:3], 0 offset:692
	s_waitcnt vmcnt(0)
	buffer_store_dword v0, off, s[0:3], 0 offset:1552 ; 4-byte Folded Spill
	buffer_load_dword v0, off, s[0:3], 0 offset:696
	s_waitcnt vmcnt(0)
	buffer_store_dword v0, off, s[0:3], 0 offset:1556 ; 4-byte Folded Spill
	buffer_load_dword v0, off, s[0:3], 0 offset:680
	s_waitcnt vmcnt(0)
	buffer_store_dword v0, off, s[0:3], 0 offset:1560 ; 4-byte Folded Spill
	buffer_load_dword v0, off, s[0:3], 0 offset:716
	s_waitcnt vmcnt(0)
	buffer_store_dword v0, off, s[0:3], 0 offset:1564 ; 4-byte Folded Spill
	buffer_load_dword v0, off, s[0:3], 0 offset:704
	s_waitcnt vmcnt(0)
	buffer_store_dword v0, off, s[0:3], 0 offset:1568 ; 4-byte Folded Spill
	buffer_load_dword v0, off, s[0:3], 0 offset:708
	s_waitcnt vmcnt(0)
	buffer_store_dword v0, off, s[0:3], 0 offset:1572 ; 4-byte Folded Spill
	buffer_load_dword v0, off, s[0:3], 0 offset:732
	s_waitcnt vmcnt(0)
	buffer_store_dword v0, off, s[0:3], 0 offset:1576 ; 4-byte Folded Spill
	buffer_load_dword v0, off, s[0:3], 0 offset:720
	s_waitcnt vmcnt(0)
	buffer_store_dword v0, off, s[0:3], 0 offset:1580 ; 4-byte Folded Spill
	buffer_load_dword v0, off, s[0:3], 0 offset:724
	s_waitcnt vmcnt(0)
	buffer_store_dword v0, off, s[0:3], 0 offset:1584 ; 4-byte Folded Spill
	buffer_load_dword v0, off, s[0:3], 0 offset:728
	s_waitcnt vmcnt(0)
	buffer_store_dword v0, off, s[0:3], 0 offset:1588 ; 4-byte Folded Spill
	buffer_load_dword v0, off, s[0:3], 0 offset:712
	s_waitcnt vmcnt(0)
	buffer_store_dword v0, off, s[0:3], 0 offset:1592 ; 4-byte Folded Spill
	buffer_load_dword v0, off, s[0:3], 0 offset:748
	s_waitcnt vmcnt(0)
	buffer_store_dword v0, off, s[0:3], 0 offset:1596 ; 4-byte Folded Spill
	buffer_load_dword v0, off, s[0:3], 0 offset:736
	s_waitcnt vmcnt(0)
	buffer_store_dword v0, off, s[0:3], 0 offset:1600 ; 4-byte Folded Spill
	buffer_load_dword v0, off, s[0:3], 0 offset:740
	s_waitcnt vmcnt(0)
	buffer_store_dword v0, off, s[0:3], 0 offset:1604 ; 4-byte Folded Spill
	buffer_load_dword v0, off, s[0:3], 0 offset:764
	s_waitcnt vmcnt(0)
	buffer_store_dword v0, off, s[0:3], 0 offset:1608 ; 4-byte Folded Spill
	buffer_load_dword v0, off, s[0:3], 0 offset:752
	s_waitcnt vmcnt(0)
	buffer_store_dword v0, off, s[0:3], 0 offset:1612 ; 4-byte Folded Spill
	buffer_load_dword v0, off, s[0:3], 0 offset:756
	s_waitcnt vmcnt(0)
	buffer_store_dword v0, off, s[0:3], 0 offset:1616 ; 4-byte Folded Spill
	buffer_load_dword v0, off, s[0:3], 0 offset:760
	s_waitcnt vmcnt(0)
	buffer_store_dword v0, off, s[0:3], 0 offset:1620 ; 4-byte Folded Spill
	buffer_load_dword v0, off, s[0:3], 0 offset:744
	s_waitcnt vmcnt(0)
	buffer_store_dword v0, off, s[0:3], 0 offset:1624 ; 4-byte Folded Spill
	buffer_load_dword v0, off, s[0:3], 0 offset:780
	s_waitcnt vmcnt(0)
	buffer_store_dword v0, off, s[0:3], 0 offset:1628 ; 4-byte Folded Spill
	buffer_load_dword v0, off, s[0:3], 0 offset:768
	s_waitcnt vmcnt(0)
	buffer_store_dword v0, off, s[0:3], 0 offset:1632 ; 4-byte Folded Spill
	buffer_load_dword v0, off, s[0:3], 0 offset:772
	s_waitcnt vmcnt(0)
	buffer_store_dword v0, off, s[0:3], 0 offset:1636 ; 4-byte Folded Spill
	buffer_load_dword v0, off, s[0:3], 0 offset:796
	s_waitcnt vmcnt(0)
	buffer_store_dword v0, off, s[0:3], 0 offset:1640 ; 4-byte Folded Spill
	buffer_load_dword v0, off, s[0:3], 0 offset:784
	s_waitcnt vmcnt(0)
	buffer_store_dword v0, off, s[0:3], 0 offset:1644 ; 4-byte Folded Spill
	buffer_load_dword v0, off, s[0:3], 0 offset:788
	s_waitcnt vmcnt(0)
	buffer_store_dword v0, off, s[0:3], 0 offset:1648 ; 4-byte Folded Spill
	buffer_load_dword v0, off, s[0:3], 0 offset:792
	s_waitcnt vmcnt(0)
	buffer_store_dword v0, off, s[0:3], 0 offset:1652 ; 4-byte Folded Spill
	buffer_load_dword v0, off, s[0:3], 0 offset:776
	s_waitcnt vmcnt(0)
	buffer_store_dword v0, off, s[0:3], 0 offset:1656 ; 4-byte Folded Spill
	buffer_load_dword v0, off, s[0:3], 0 offset:812
	s_waitcnt vmcnt(0)
	buffer_store_dword v0, off, s[0:3], 0 offset:1660 ; 4-byte Folded Spill
	buffer_load_dword v0, off, s[0:3], 0 offset:800
	s_waitcnt vmcnt(0)
	buffer_store_dword v0, off, s[0:3], 0 offset:1664 ; 4-byte Folded Spill
	buffer_load_dword v0, off, s[0:3], 0 offset:804
	s_waitcnt vmcnt(0)
	buffer_store_dword v0, off, s[0:3], 0 offset:1668 ; 4-byte Folded Spill
	buffer_load_dword v0, off, s[0:3], 0 offset:828
	s_waitcnt vmcnt(0)
	buffer_store_dword v0, off, s[0:3], 0 offset:1672 ; 4-byte Folded Spill
	buffer_load_dword v0, off, s[0:3], 0 offset:816
	s_waitcnt vmcnt(0)
	buffer_store_dword v0, off, s[0:3], 0 offset:1676 ; 4-byte Folded Spill
	buffer_load_dword v0, off, s[0:3], 0 offset:820
	s_waitcnt vmcnt(0)
	buffer_store_dword v0, off, s[0:3], 0 offset:1680 ; 4-byte Folded Spill
	buffer_load_dword v0, off, s[0:3], 0 offset:824
	s_waitcnt vmcnt(0)
	buffer_store_dword v0, off, s[0:3], 0 offset:1684 ; 4-byte Folded Spill
	buffer_load_dword v0, off, s[0:3], 0 offset:808
	s_waitcnt vmcnt(0)
	buffer_store_dword v0, off, s[0:3], 0 offset:1688 ; 4-byte Folded Spill
.LBB4_27:                               ; =>This Loop Header: Depth=1
                                        ;     Child Loop BB4_28 Depth 2
	s_lshl_b64 s[4:5], s[24:25], 4
	s_add_u32 s4, s38, s4
	s_addc_u32 s5, s39, s5
	global_load_dwordx4 v[0:3], v6, s[4:5]
	buffer_load_dword v5, off, s[0:3], 0 offset:1276 ; 4-byte Folded Reload
	s_nop 0
	buffer_load_dword v6, off, s[0:3], 0 offset:1288 ; 4-byte Folded Reload
	s_mov_b32 s37, s31
	s_mov_b64 s[26:27], s[18:19]
	s_waitcnt vmcnt(2)
	v_ashrrev_i32_e32 v4, 31, v3
	s_waitcnt vmcnt(0)
	v_fma_f32 v7, v0, v5, v6
	buffer_load_dword v5, off, s[0:3], 0 offset:1280 ; 4-byte Folded Reload
	s_waitcnt vmcnt(0)
	v_fmac_f32_e32 v7, v1, v5
	buffer_load_dword v5, off, s[0:3], 0 offset:1292 ; 4-byte Folded Reload
	buffer_load_dword v6, off, s[0:3], 0 offset:1304 ; 4-byte Folded Reload
	s_waitcnt vmcnt(0)
	v_fma_f32 v8, v0, v5, v6
	buffer_load_dword v5, off, s[0:3], 0 offset:1296 ; 4-byte Folded Reload
	s_waitcnt vmcnt(0)
	v_fmac_f32_e32 v8, v1, v5
	buffer_load_dword v5, off, s[0:3], 0 offset:1308 ; 4-byte Folded Reload
	buffer_load_dword v6, off, s[0:3], 0 offset:1320 ; 4-byte Folded Reload
	;; [unrolled: 7-line block ×26, first 2 shown]
	s_waitcnt vmcnt(0)
	v_fma_f32 v29, v0, v6, v5
	buffer_load_dword v5, off, s[0:3], 0 offset:1348 ; 4-byte Folded Reload
	s_waitcnt vmcnt(0)
	v_fmac_f32_e32 v29, v1, v5
	buffer_load_dword v5, off, s[0:3], 0 offset:1284 ; 4-byte Folded Reload
	s_waitcnt vmcnt(0)
	v_fmac_f32_e32 v7, v2, v5
	;; [unrolled: 3-line block ×28, first 2 shown]
	buffer_store_dword v7, off, s[0:3], 0 offset:832 ; 4-byte Folded Spill
	buffer_store_dword v8, off, s[0:3], 0 offset:836 ; 4-byte Folded Spill
	;; [unrolled: 1-line block ×21, first 2 shown]
	buffer_load_dword v5, off, s[0:3], 0 offset:1352 ; 4-byte Folded Reload
	buffer_load_dword v6, off, s[0:3], 0 offset:1356 ; 4-byte Folded Reload
	s_waitcnt vmcnt(0)
	v_fma_f32 v30, v0, v6, v5
	buffer_load_dword v5, off, s[0:3], 0 offset:1360 ; 4-byte Folded Reload
	s_waitcnt vmcnt(0)
	v_fmac_f32_e32 v30, v1, v5
	buffer_load_dword v5, off, s[0:3], 0 offset:1364 ; 4-byte Folded Reload
	s_waitcnt vmcnt(0)
	v_fmac_f32_e32 v30, v2, v5
	buffer_load_dword v5, off, s[0:3], 0 offset:1372 ; 4-byte Folded Reload
	buffer_load_dword v6, off, s[0:3], 0 offset:1376 ; 4-byte Folded Reload
	s_waitcnt vmcnt(0)
	v_fma_f32 v31, v0, v6, v5
	buffer_load_dword v5, off, s[0:3], 0 offset:1380 ; 4-byte Folded Reload
	s_waitcnt vmcnt(0)
	v_fmac_f32_e32 v31, v1, v5
	buffer_load_dword v5, off, s[0:3], 0 offset:1400 ; 4-byte Folded Reload
	s_waitcnt vmcnt(0)
	v_fmac_f32_e32 v31, v2, v5
	;; [unrolled: 10-line block ×21, first 2 shown]
	v_lshlrev_b64 v[0:1], 4, v[3:4]
	v_mov_b32_e32 v2, s23
	v_add_co_u32_e32 v0, vcc, s22, v0
	v_addc_co_u32_e32 v1, vcc, v2, v1, vcc
	global_load_dwordx4 v[0:3], v[0:1], off
	s_waitcnt vmcnt(0)
	v_cmp_eq_u32_e64 s[8:9], s34, v0
	v_cmp_eq_u32_e64 s[10:11], s35, v0
	v_cmp_gt_f32_e64 s[12:13], 0, v2
	v_mov_b32_e32 v0, 0x40b00000
	v_cndmask_b32_e64 v0, 1.0, v0, s[12:13]
	buffer_store_dword v0, off, s[0:3], 0 offset:916 ; 4-byte Folded Spill
	v_mov_b32_e32 v0, 0xff7fffff
	v_cmp_lt_f32_e64 s[6:7], 0, v2
	v_cndmask_b32_e64 v0, v0, 1.0, s[12:13]
	buffer_store_dword v0, off, s[0:3], 0 offset:920 ; 4-byte Folded Spill
.LBB4_28:                               ;   Parent Loop BB4_27 Depth=1
                                        ; =>  This Inner Loop Header: Depth=2
	v_mov_b32_e32 v0, 0
	global_load_dwordx4 v[4:7], v0, s[26:27] offset:-8
	v_mov_b32_e32 v0, s23
	s_waitcnt vmcnt(0)
	v_ashrrev_i32_e32 v14, 31, v7
	v_mov_b32_e32 v13, v7
	v_lshlrev_b64 v[13:14], 4, v[13:14]
	v_add_co_u32_e32 v13, vcc, s22, v13
	v_addc_co_u32_e32 v14, vcc, v0, v14, vcc
	global_load_dwordx4 v[18:21], v[13:14], off
	s_waitcnt vmcnt(0)
	v_add_f32_e32 v15, v1, v19
	v_div_scale_f32 v0, s[4:5], v15, v15, 1.0
	v_cmp_lt_f32_e64 s[4:5], 0, v20
	s_and_b64 s[4:5], s[4:5], s[12:13]
	v_cmp_neq_f32_e64 s[14:15], 0, v20
	v_rcp_f32_e32 v7, v0
	v_fma_f32 v11, -v0, v7, 1.0
	v_fmac_f32_e32 v7, v11, v7
	v_div_scale_f32 v11, vcc, 1.0, v15, 1.0
	v_mul_f32_e32 v13, v11, v7
	v_fma_f32 v14, -v0, v13, v11
	v_fmac_f32_e32 v13, v14, v7
	v_fma_f32 v0, -v0, v13, v11
	v_div_fmas_f32 v0, v0, v7, v13
	buffer_load_dword v7, off, s[0:3], 0 offset:916 ; 4-byte Folded Reload
	buffer_load_dword v13, off, s[0:3], 0 offset:920 ; 4-byte Folded Reload
	v_cmp_eq_u32_e32 vcc, s34, v18
	s_and_b64 vcc, vcc, s[8:9]
	v_cndmask_b32_e64 v11, 2.0, 4.0, vcc
	v_div_fixup_f32 v17, v0, v15, 1.0
	v_mov_b32_e32 v0, 0x3e800000
	v_cndmask_b32_e32 v16, 0.5, v0, vcc
	v_cmp_eq_u32_e32 vcc, s35, v18
	s_or_b64 s[28:29], vcc, s[10:11]
	v_cmp_gt_f32_e32 vcc, 0, v20
	v_cndmask_b32_e64 v18, v2, -v2, s[4:5]
	s_and_b64 s[40:41], vcc, s[6:7]
	v_cndmask_b32_e64 v0, v20, -v20, s[40:41]
	v_add_f32_e32 v0, v0, v18
	buffer_load_dword v18, off, s[0:3], 0 offset:832 ; 4-byte Folded Reload
	s_waitcnt vmcnt(1)
	v_cndmask_b32_e32 v7, v13, v7, vcc
	v_div_scale_f32 v13, s[4:5], v7, v7, 1.0
	v_rcp_f32_e32 v14, v13
	v_fma_f32 v19, -v13, v14, 1.0
	v_fmac_f32_e32 v14, v19, v14
	v_div_scale_f32 v19, vcc, 1.0, v7, 1.0
	v_mul_f32_e32 v20, v19, v14
	v_fma_f32 v22, -v13, v20, v19
	v_fmac_f32_e32 v20, v22, v14
	v_fma_f32 v13, -v13, v20, v19
	buffer_load_dword v19, off, s[0:3], 0 offset:836 ; 4-byte Folded Reload
	v_div_fmas_f32 v13, v13, v14, v20
	buffer_load_dword v20, off, s[0:3], 0 offset:840 ; 4-byte Folded Reload
	s_waitcnt vmcnt(2)
	v_sub_f32_e32 v18, v18, v4
	v_mul_f32_e32 v14, v3, v21
	v_div_fixup_f32 v13, v13, v7, 1.0
	s_waitcnt vmcnt(1)
	v_sub_f32_e32 v19, v19, v5
	v_mul_f32_e32 v19, v19, v19
	s_waitcnt vmcnt(0)
	v_sub_f32_e32 v20, v20, v6
	v_fmac_f32_e32 v19, v18, v18
	v_fmac_f32_e32 v19, v20, v20
	v_cmp_gt_f32_e32 vcc, s36, v19
	v_mul_f32_e32 v18, 0x4f800000, v19
	v_cndmask_b32_e32 v18, v19, v18, vcc
	v_sqrt_f32_e32 v19, v18
	v_add_u32_e32 v20, -1, v19
	v_fma_f32 v21, -v20, v19, v18
	v_cmp_ge_f32_e64 s[4:5], 0, v21
	v_add_u32_e32 v21, 1, v19
	v_cndmask_b32_e64 v20, v19, v20, s[4:5]
	v_fma_f32 v19, -v21, v19, v18
	v_cmp_lt_f32_e64 s[4:5], 0, v19
	v_cndmask_b32_e64 v19, v20, v21, s[4:5]
	v_mul_f32_e32 v20, 0x37800000, v19
	v_cndmask_b32_e32 v19, v19, v20, vcc
	v_cmp_class_f32_e32 vcc, v18, v55
	v_cndmask_b32_e32 v18, v19, v18, vcc
	v_sub_f32_e32 v19, v18, v15
	v_cmp_gt_f32_e32 vcc, 0, v19
	v_fma_f32 v18, -v17, v18, 1.0
	v_cndmask_b32_e32 v20, 0, v56, vcc
	v_fmac_f32_e32 v40, v18, v20
	v_fma_f32 v18, -v16, v19, 1.0
	v_cmp_lt_f32_e64 s[4:5], v19, v11
	v_cndmask_b32_e64 v18, v18, 1.0, vcc
	v_cndmask_b32_e64 v20, 0, 1.0, s[4:5]
	v_mul_f32_e32 v18, v20, v18
	v_mul_f32_e32 v18, v14, v18
	v_cmp_lt_f32_e64 s[4:5], v19, v7
	v_cndmask_b32_e64 v18, v18, -|v18|, s[28:29]
	s_and_b64 s[4:5], s[14:15], s[4:5]
	v_fmac_f32_e32 v40, 0x42340000, v18
	v_fma_f32 v18, -v13, v19, 1.0
	v_cndmask_b32_e64 v19, 0, 1.0, s[4:5]
	v_mul_f32_e32 v19, v0, v19
	v_cndmask_b32_e64 v18, v18, 1.0, vcc
	v_fmac_f32_e32 v40, v18, v19
	buffer_load_dword v18, off, s[0:3], 0 offset:844 ; 4-byte Folded Reload
	buffer_load_dword v19, off, s[0:3], 0 offset:848 ; 4-byte Folded Reload
	buffer_load_dword v20, off, s[0:3], 0 offset:852 ; 4-byte Folded Reload
	s_waitcnt vmcnt(2)
	v_sub_f32_e32 v18, v18, v4
	s_waitcnt vmcnt(1)
	v_sub_f32_e32 v19, v19, v5
	v_mul_f32_e32 v19, v19, v19
	s_waitcnt vmcnt(0)
	v_sub_f32_e32 v20, v20, v6
	v_fmac_f32_e32 v19, v18, v18
	v_fmac_f32_e32 v19, v20, v20
	v_cmp_gt_f32_e32 vcc, s36, v19
	v_mul_f32_e32 v18, 0x4f800000, v19
	v_cndmask_b32_e32 v18, v19, v18, vcc
	v_sqrt_f32_e32 v19, v18
	v_add_u32_e32 v20, -1, v19
	v_fma_f32 v21, -v20, v19, v18
	v_cmp_ge_f32_e64 s[4:5], 0, v21
	v_add_u32_e32 v21, 1, v19
	v_cndmask_b32_e64 v20, v19, v20, s[4:5]
	v_fma_f32 v19, -v21, v19, v18
	v_cmp_lt_f32_e64 s[4:5], 0, v19
	v_cndmask_b32_e64 v19, v20, v21, s[4:5]
	v_mul_f32_e32 v20, 0x37800000, v19
	v_cndmask_b32_e32 v19, v19, v20, vcc
	v_cmp_class_f32_e32 vcc, v18, v55
	v_cndmask_b32_e32 v18, v19, v18, vcc
	v_sub_f32_e32 v19, v18, v15
	v_cmp_gt_f32_e32 vcc, 0, v19
	v_fma_f32 v18, -v17, v18, 1.0
	v_cndmask_b32_e32 v20, 0, v56, vcc
	v_fmac_f32_e32 v26, v18, v20
	v_fma_f32 v18, -v16, v19, 1.0
	v_cmp_lt_f32_e64 s[4:5], v19, v11
	v_cndmask_b32_e64 v18, v18, 1.0, vcc
	v_cndmask_b32_e64 v20, 0, 1.0, s[4:5]
	v_mul_f32_e32 v18, v20, v18
	v_mul_f32_e32 v18, v14, v18
	v_cmp_lt_f32_e64 s[4:5], v19, v7
	v_cndmask_b32_e64 v18, v18, -|v18|, s[28:29]
	s_and_b64 s[4:5], s[14:15], s[4:5]
	v_fmac_f32_e32 v26, 0x42340000, v18
	v_fma_f32 v18, -v13, v19, 1.0
	v_cndmask_b32_e64 v19, 0, 1.0, s[4:5]
	v_mul_f32_e32 v19, v0, v19
	v_cndmask_b32_e64 v18, v18, 1.0, vcc
	v_fmac_f32_e32 v26, v18, v19
	buffer_load_dword v18, off, s[0:3], 0 offset:856 ; 4-byte Folded Reload
	buffer_load_dword v19, off, s[0:3], 0 offset:860 ; 4-byte Folded Reload
	buffer_load_dword v20, off, s[0:3], 0 offset:864 ; 4-byte Folded Reload
	s_waitcnt vmcnt(2)
	v_sub_f32_e32 v18, v18, v4
	s_waitcnt vmcnt(1)
	v_sub_f32_e32 v19, v19, v5
	v_mul_f32_e32 v19, v19, v19
	s_waitcnt vmcnt(0)
	v_sub_f32_e32 v20, v20, v6
	v_fmac_f32_e32 v19, v18, v18
	v_fmac_f32_e32 v19, v20, v20
	v_cmp_gt_f32_e32 vcc, s36, v19
	v_mul_f32_e32 v18, 0x4f800000, v19
	v_cndmask_b32_e32 v18, v19, v18, vcc
	v_sqrt_f32_e32 v19, v18
	v_add_u32_e32 v20, -1, v19
	v_fma_f32 v21, -v20, v19, v18
	v_cmp_ge_f32_e64 s[4:5], 0, v21
	v_add_u32_e32 v21, 1, v19
	v_cndmask_b32_e64 v20, v19, v20, s[4:5]
	v_fma_f32 v19, -v21, v19, v18
	v_cmp_lt_f32_e64 s[4:5], 0, v19
	v_cndmask_b32_e64 v19, v20, v21, s[4:5]
	v_mul_f32_e32 v20, 0x37800000, v19
	v_cndmask_b32_e32 v19, v19, v20, vcc
	v_cmp_class_f32_e32 vcc, v18, v55
	v_cndmask_b32_e32 v18, v19, v18, vcc
	v_sub_f32_e32 v19, v18, v15
	v_cmp_gt_f32_e32 vcc, 0, v19
	v_fma_f32 v18, -v17, v18, 1.0
	v_cndmask_b32_e32 v20, 0, v56, vcc
	v_fmac_f32_e32 v12, v18, v20
	v_fma_f32 v18, -v16, v19, 1.0
	v_cmp_lt_f32_e64 s[4:5], v19, v11
	v_cndmask_b32_e64 v18, v18, 1.0, vcc
	v_cndmask_b32_e64 v20, 0, 1.0, s[4:5]
	v_mul_f32_e32 v18, v20, v18
	v_mul_f32_e32 v18, v14, v18
	v_cmp_lt_f32_e64 s[4:5], v19, v7
	v_cndmask_b32_e64 v18, v18, -|v18|, s[28:29]
	s_and_b64 s[4:5], s[14:15], s[4:5]
	v_fmac_f32_e32 v12, 0x42340000, v18
	v_fma_f32 v18, -v13, v19, 1.0
	v_cndmask_b32_e64 v19, 0, 1.0, s[4:5]
	v_mul_f32_e32 v19, v0, v19
	v_cndmask_b32_e64 v18, v18, 1.0, vcc
	v_fmac_f32_e32 v12, v18, v19
	buffer_load_dword v18, off, s[0:3], 0 offset:868 ; 4-byte Folded Reload
	buffer_load_dword v19, off, s[0:3], 0 offset:872 ; 4-byte Folded Reload
	buffer_load_dword v20, off, s[0:3], 0 offset:876 ; 4-byte Folded Reload
	s_waitcnt vmcnt(2)
	v_sub_f32_e32 v18, v18, v4
	s_waitcnt vmcnt(1)
	v_sub_f32_e32 v19, v19, v5
	v_mul_f32_e32 v19, v19, v19
	s_waitcnt vmcnt(0)
	v_sub_f32_e32 v20, v20, v6
	v_fmac_f32_e32 v19, v18, v18
	v_fmac_f32_e32 v19, v20, v20
	v_cmp_gt_f32_e32 vcc, s36, v19
	v_mul_f32_e32 v18, 0x4f800000, v19
	v_cndmask_b32_e32 v18, v19, v18, vcc
	v_sqrt_f32_e32 v19, v18
	v_add_u32_e32 v20, -1, v19
	v_fma_f32 v21, -v20, v19, v18
	v_cmp_ge_f32_e64 s[4:5], 0, v21
	v_add_u32_e32 v21, 1, v19
	v_cndmask_b32_e64 v20, v19, v20, s[4:5]
	v_fma_f32 v19, -v21, v19, v18
	v_cmp_lt_f32_e64 s[4:5], 0, v19
	v_cndmask_b32_e64 v19, v20, v21, s[4:5]
	v_mul_f32_e32 v20, 0x37800000, v19
	v_cndmask_b32_e32 v19, v19, v20, vcc
	v_cmp_class_f32_e32 vcc, v18, v55
	v_cndmask_b32_e32 v18, v19, v18, vcc
	v_sub_f32_e32 v19, v18, v15
	v_cmp_gt_f32_e32 vcc, 0, v19
	v_fma_f32 v18, -v17, v18, 1.0
	v_cndmask_b32_e32 v20, 0, v56, vcc
	v_fmac_f32_e32 v54, v18, v20
	v_fma_f32 v18, -v16, v19, 1.0
	v_cmp_lt_f32_e64 s[4:5], v19, v11
	v_cndmask_b32_e64 v18, v18, 1.0, vcc
	v_cndmask_b32_e64 v20, 0, 1.0, s[4:5]
	v_mul_f32_e32 v18, v20, v18
	v_mul_f32_e32 v18, v14, v18
	v_cmp_lt_f32_e64 s[4:5], v19, v7
	v_cndmask_b32_e64 v18, v18, -|v18|, s[28:29]
	s_and_b64 s[4:5], s[14:15], s[4:5]
	v_fmac_f32_e32 v54, 0x42340000, v18
	v_fma_f32 v18, -v13, v19, 1.0
	v_cndmask_b32_e64 v19, 0, 1.0, s[4:5]
	v_mul_f32_e32 v19, v0, v19
	v_cndmask_b32_e64 v18, v18, 1.0, vcc
	v_fmac_f32_e32 v54, v18, v19
	buffer_load_dword v18, off, s[0:3], 0 offset:880 ; 4-byte Folded Reload
	buffer_load_dword v19, off, s[0:3], 0 offset:884 ; 4-byte Folded Reload
	buffer_load_dword v20, off, s[0:3], 0 offset:888 ; 4-byte Folded Reload
	s_waitcnt vmcnt(2)
	v_sub_f32_e32 v18, v18, v4
	s_waitcnt vmcnt(1)
	v_sub_f32_e32 v19, v19, v5
	v_mul_f32_e32 v19, v19, v19
	s_waitcnt vmcnt(0)
	v_sub_f32_e32 v20, v20, v6
	v_fmac_f32_e32 v19, v18, v18
	v_fmac_f32_e32 v19, v20, v20
	v_cmp_gt_f32_e32 vcc, s36, v19
	v_mul_f32_e32 v18, 0x4f800000, v19
	v_cndmask_b32_e32 v18, v19, v18, vcc
	v_sqrt_f32_e32 v19, v18
	v_add_u32_e32 v20, -1, v19
	v_fma_f32 v21, -v20, v19, v18
	v_cmp_ge_f32_e64 s[4:5], 0, v21
	v_add_u32_e32 v21, 1, v19
	v_cndmask_b32_e64 v20, v19, v20, s[4:5]
	v_fma_f32 v19, -v21, v19, v18
	v_cmp_lt_f32_e64 s[4:5], 0, v19
	v_cndmask_b32_e64 v19, v20, v21, s[4:5]
	v_mul_f32_e32 v20, 0x37800000, v19
	v_cndmask_b32_e32 v19, v19, v20, vcc
	v_cmp_class_f32_e32 vcc, v18, v55
	v_cndmask_b32_e32 v18, v19, v18, vcc
	v_sub_f32_e32 v19, v18, v15
	v_cmp_gt_f32_e32 vcc, 0, v19
	v_fma_f32 v18, -v17, v18, 1.0
	v_cndmask_b32_e32 v20, 0, v56, vcc
	v_fmac_f32_e32 v52, v18, v20
	v_fma_f32 v18, -v16, v19, 1.0
	v_cmp_lt_f32_e64 s[4:5], v19, v11
	v_cndmask_b32_e64 v18, v18, 1.0, vcc
	v_cndmask_b32_e64 v20, 0, 1.0, s[4:5]
	v_mul_f32_e32 v18, v20, v18
	v_mul_f32_e32 v18, v14, v18
	v_cmp_lt_f32_e64 s[4:5], v19, v7
	v_cndmask_b32_e64 v18, v18, -|v18|, s[28:29]
	s_and_b64 s[4:5], s[14:15], s[4:5]
	v_fmac_f32_e32 v52, 0x42340000, v18
	v_fma_f32 v18, -v13, v19, 1.0
	v_cndmask_b32_e64 v19, 0, 1.0, s[4:5]
	v_mul_f32_e32 v19, v0, v19
	v_cndmask_b32_e64 v18, v18, 1.0, vcc
	v_fmac_f32_e32 v52, v18, v19
	buffer_load_dword v18, off, s[0:3], 0 offset:892 ; 4-byte Folded Reload
	buffer_load_dword v19, off, s[0:3], 0 offset:896 ; 4-byte Folded Reload
	buffer_load_dword v20, off, s[0:3], 0 offset:900 ; 4-byte Folded Reload
	s_waitcnt vmcnt(2)
	v_sub_f32_e32 v18, v18, v4
	s_waitcnt vmcnt(1)
	v_sub_f32_e32 v19, v19, v5
	v_mul_f32_e32 v19, v19, v19
	s_waitcnt vmcnt(0)
	v_sub_f32_e32 v20, v20, v6
	v_fmac_f32_e32 v19, v18, v18
	v_fmac_f32_e32 v19, v20, v20
	v_cmp_gt_f32_e32 vcc, s36, v19
	v_mul_f32_e32 v18, 0x4f800000, v19
	v_cndmask_b32_e32 v18, v19, v18, vcc
	v_sqrt_f32_e32 v19, v18
	v_add_u32_e32 v20, -1, v19
	v_fma_f32 v21, -v20, v19, v18
	v_cmp_ge_f32_e64 s[4:5], 0, v21
	v_add_u32_e32 v21, 1, v19
	v_cndmask_b32_e64 v20, v19, v20, s[4:5]
	v_fma_f32 v19, -v21, v19, v18
	v_cmp_lt_f32_e64 s[4:5], 0, v19
	v_cndmask_b32_e64 v19, v20, v21, s[4:5]
	v_mul_f32_e32 v20, 0x37800000, v19
	v_cndmask_b32_e32 v19, v19, v20, vcc
	v_cmp_class_f32_e32 vcc, v18, v55
	v_cndmask_b32_e32 v18, v19, v18, vcc
	v_sub_f32_e32 v19, v18, v15
	v_cmp_gt_f32_e32 vcc, 0, v19
	v_fma_f32 v18, -v17, v18, 1.0
	v_cndmask_b32_e32 v20, 0, v56, vcc
	v_fmac_f32_e32 v51, v18, v20
	v_fma_f32 v18, -v16, v19, 1.0
	v_cmp_lt_f32_e64 s[4:5], v19, v11
	v_cndmask_b32_e64 v18, v18, 1.0, vcc
	v_cndmask_b32_e64 v20, 0, 1.0, s[4:5]
	v_mul_f32_e32 v18, v20, v18
	v_mul_f32_e32 v18, v14, v18
	v_cmp_lt_f32_e64 s[4:5], v19, v7
	v_cndmask_b32_e64 v18, v18, -|v18|, s[28:29]
	s_and_b64 s[4:5], s[14:15], s[4:5]
	v_fmac_f32_e32 v51, 0x42340000, v18
	v_fma_f32 v18, -v13, v19, 1.0
	v_cndmask_b32_e64 v19, 0, 1.0, s[4:5]
	v_mul_f32_e32 v19, v0, v19
	v_cndmask_b32_e64 v18, v18, 1.0, vcc
	v_fmac_f32_e32 v51, v18, v19
	buffer_load_dword v18, off, s[0:3], 0 offset:904 ; 4-byte Folded Reload
	buffer_load_dword v19, off, s[0:3], 0 offset:908 ; 4-byte Folded Reload
	buffer_load_dword v20, off, s[0:3], 0 offset:912 ; 4-byte Folded Reload
	s_waitcnt vmcnt(2)
	v_sub_f32_e32 v18, v18, v4
	s_waitcnt vmcnt(1)
	v_sub_f32_e32 v19, v19, v5
	v_mul_f32_e32 v19, v19, v19
	s_waitcnt vmcnt(0)
	v_sub_f32_e32 v20, v20, v6
	v_fmac_f32_e32 v19, v18, v18
	v_fmac_f32_e32 v19, v20, v20
	v_cmp_gt_f32_e32 vcc, s36, v19
	v_mul_f32_e32 v18, 0x4f800000, v19
	v_cndmask_b32_e32 v18, v19, v18, vcc
	v_sqrt_f32_e32 v19, v18
	v_add_u32_e32 v20, -1, v19
	v_fma_f32 v21, -v20, v19, v18
	v_cmp_ge_f32_e64 s[4:5], 0, v21
	v_add_u32_e32 v21, 1, v19
	v_cndmask_b32_e64 v20, v19, v20, s[4:5]
	v_fma_f32 v19, -v21, v19, v18
	v_cmp_lt_f32_e64 s[4:5], 0, v19
	v_cndmask_b32_e64 v19, v20, v21, s[4:5]
	v_mul_f32_e32 v20, 0x37800000, v19
	v_cndmask_b32_e32 v19, v19, v20, vcc
	v_cmp_class_f32_e32 vcc, v18, v55
	v_cndmask_b32_e32 v18, v19, v18, vcc
	v_sub_f32_e32 v19, v18, v15
	v_cmp_gt_f32_e32 vcc, 0, v19
	v_fma_f32 v18, -v17, v18, 1.0
	v_cndmask_b32_e32 v20, 0, v56, vcc
	v_fmac_f32_e32 v50, v18, v20
	v_fma_f32 v18, -v16, v19, 1.0
	v_cmp_lt_f32_e64 s[4:5], v19, v11
	v_cndmask_b32_e64 v18, v18, 1.0, vcc
	v_cndmask_b32_e64 v20, 0, 1.0, s[4:5]
	v_mul_f32_e32 v18, v20, v18
	v_mul_f32_e32 v18, v14, v18
	v_cmp_lt_f32_e64 s[4:5], v19, v7
	v_cndmask_b32_e64 v18, v18, -|v18|, s[28:29]
	s_and_b64 s[4:5], s[14:15], s[4:5]
	v_fmac_f32_e32 v50, 0x42340000, v18
	v_fma_f32 v18, -v13, v19, 1.0
	v_cndmask_b32_e64 v19, 0, 1.0, s[4:5]
	v_mul_f32_e32 v19, v0, v19
	v_cndmask_b32_e64 v18, v18, 1.0, vcc
	v_fmac_f32_e32 v50, v18, v19
	v_sub_f32_e32 v19, v24, v5
	v_sub_f32_e32 v18, v23, v4
	v_mul_f32_e32 v19, v19, v19
	v_sub_f32_e32 v20, v25, v6
	v_fmac_f32_e32 v19, v18, v18
	v_fmac_f32_e32 v19, v20, v20
	v_cmp_gt_f32_e32 vcc, s36, v19
	v_mul_f32_e32 v18, 0x4f800000, v19
	v_cndmask_b32_e32 v18, v19, v18, vcc
	v_sqrt_f32_e32 v19, v18
	v_add_u32_e32 v20, -1, v19
	v_fma_f32 v21, -v20, v19, v18
	v_cmp_ge_f32_e64 s[4:5], 0, v21
	v_add_u32_e32 v21, 1, v19
	v_cndmask_b32_e64 v20, v19, v20, s[4:5]
	v_fma_f32 v19, -v21, v19, v18
	v_cmp_lt_f32_e64 s[4:5], 0, v19
	v_cndmask_b32_e64 v19, v20, v21, s[4:5]
	v_mul_f32_e32 v20, 0x37800000, v19
	v_cndmask_b32_e32 v19, v19, v20, vcc
	v_cmp_class_f32_e32 vcc, v18, v55
	v_cndmask_b32_e32 v18, v19, v18, vcc
	v_sub_f32_e32 v19, v18, v15
	v_cmp_gt_f32_e32 vcc, 0, v19
	v_fma_f32 v18, -v17, v18, 1.0
	v_cndmask_b32_e32 v20, 0, v56, vcc
	v_fmac_f32_e32 v49, v18, v20
	v_fma_f32 v18, -v16, v19, 1.0
	v_cmp_lt_f32_e64 s[4:5], v19, v11
	v_cndmask_b32_e64 v18, v18, 1.0, vcc
	v_cndmask_b32_e64 v20, 0, 1.0, s[4:5]
	v_mul_f32_e32 v18, v20, v18
	v_mul_f32_e32 v18, v14, v18
	v_cmp_lt_f32_e64 s[4:5], v19, v7
	v_cndmask_b32_e64 v18, v18, -|v18|, s[28:29]
	s_and_b64 s[4:5], s[14:15], s[4:5]
	v_fmac_f32_e32 v49, 0x42340000, v18
	v_fma_f32 v18, -v13, v19, 1.0
	v_cndmask_b32_e64 v19, 0, 1.0, s[4:5]
	v_mul_f32_e32 v19, v0, v19
	v_cndmask_b32_e64 v18, v18, 1.0, vcc
	v_fmac_f32_e32 v49, v18, v19
	v_sub_f32_e32 v19, v28, v5
	v_sub_f32_e32 v18, v27, v4
	v_mul_f32_e32 v19, v19, v19
	;; [unrolled: 42-line block ×8, first 2 shown]
	v_sub_f32_e32 v20, v63, v6
	v_fmac_f32_e32 v19, v18, v18
	v_fmac_f32_e32 v19, v20, v20
	v_cmp_gt_f32_e32 vcc, s36, v19
	v_mul_f32_e32 v18, 0x4f800000, v19
	v_cndmask_b32_e32 v18, v19, v18, vcc
	v_sqrt_f32_e32 v19, v18
	v_sub_f32_e32 v4, v8, v4
	v_add_u32_e32 v20, -1, v19
	v_fma_f32 v21, -v20, v19, v18
	v_cmp_ge_f32_e64 s[4:5], 0, v21
	v_add_u32_e32 v21, 1, v19
	v_cndmask_b32_e64 v20, v19, v20, s[4:5]
	v_fma_f32 v19, -v21, v19, v18
	v_cmp_lt_f32_e64 s[4:5], 0, v19
	v_cndmask_b32_e64 v19, v20, v21, s[4:5]
	v_mul_f32_e32 v20, 0x37800000, v19
	v_cndmask_b32_e32 v19, v19, v20, vcc
	v_cmp_class_f32_e32 vcc, v18, v55
	v_cndmask_b32_e32 v18, v19, v18, vcc
	v_sub_f32_e32 v19, v18, v15
	v_cmp_gt_f32_e32 vcc, 0, v19
	v_fma_f32 v18, -v17, v18, 1.0
	v_cndmask_b32_e32 v20, 0, v56, vcc
	v_fmac_f32_e32 v42, v18, v20
	v_fma_f32 v18, -v16, v19, 1.0
	v_cmp_lt_f32_e64 s[4:5], v19, v11
	v_cndmask_b32_e64 v18, v18, 1.0, vcc
	v_cndmask_b32_e64 v20, 0, 1.0, s[4:5]
	v_mul_f32_e32 v18, v20, v18
	v_mul_f32_e32 v18, v14, v18
	v_cmp_lt_f32_e64 s[4:5], v19, v7
	v_cndmask_b32_e64 v18, v18, -|v18|, s[28:29]
	s_and_b64 s[4:5], s[14:15], s[4:5]
	v_fmac_f32_e32 v42, 0x42340000, v18
	v_fma_f32 v18, -v13, v19, 1.0
	v_cndmask_b32_e64 v19, 0, 1.0, s[4:5]
	v_mul_f32_e32 v19, v0, v19
	v_cndmask_b32_e64 v18, v18, 1.0, vcc
	v_fmac_f32_e32 v42, v18, v19
	v_sub_f32_e32 v18, v9, v5
	v_sub_f32_e32 v5, v10, v6
	v_mul_f32_e32 v6, v18, v18
	v_fmac_f32_e32 v6, v4, v4
	v_fmac_f32_e32 v6, v5, v5
	v_cmp_gt_f32_e32 vcc, s36, v6
	v_mul_f32_e32 v4, 0x4f800000, v6
	v_cndmask_b32_e32 v4, v6, v4, vcc
	v_sqrt_f32_e32 v5, v4
	v_add_u32_e32 v6, -1, v5
	v_fma_f32 v18, -v6, v5, v4
	v_cmp_ge_f32_e64 s[4:5], 0, v18
	v_add_u32_e32 v18, 1, v5
	v_cndmask_b32_e64 v6, v5, v6, s[4:5]
	v_fma_f32 v5, -v18, v5, v4
	v_cmp_lt_f32_e64 s[4:5], 0, v5
	v_cndmask_b32_e64 v5, v6, v18, s[4:5]
	v_mul_f32_e32 v6, 0x37800000, v5
	v_cndmask_b32_e32 v5, v5, v6, vcc
	v_cmp_class_f32_e32 vcc, v4, v55
	v_cndmask_b32_e32 v5, v5, v4, vcc
	v_sub_f32_e32 v4, v5, v15
	v_cmp_gt_f32_e32 vcc, 0, v4
	v_fma_f32 v5, -v17, v5, 1.0
	v_cndmask_b32_e32 v6, 0, v56, vcc
	v_fmac_f32_e32 v41, v5, v6
	v_fma_f32 v5, -v16, v4, 1.0
	v_cmp_lt_f32_e64 s[4:5], v4, v11
	v_cndmask_b32_e64 v5, v5, 1.0, vcc
	v_cndmask_b32_e64 v6, 0, 1.0, s[4:5]
	v_mul_f32_e32 v5, v6, v5
	v_mul_f32_e32 v5, v14, v5
	v_cmp_lt_f32_e64 s[4:5], v4, v7
	v_cndmask_b32_e64 v5, v5, -|v5|, s[28:29]
	s_and_b64 s[4:5], s[14:15], s[4:5]
	v_fmac_f32_e32 v41, 0x42340000, v5
	v_fma_f32 v5, -v13, v4, 1.0
	v_cndmask_b32_e64 v4, 0, 1.0, s[4:5]
	s_add_u32 s26, s26, 16
	v_mul_f32_e32 v0, v0, v4
	v_cndmask_b32_e64 v4, v5, 1.0, vcc
	s_addc_u32 s27, s27, 0
	s_add_i32 s37, s37, -1
	v_mov_b32_e32 v6, 0
	v_fmac_f32_e32 v41, v4, v0
	s_cmp_lg_u32 s37, 0
	s_cbranch_scc1 .LBB4_28
; %bb.29:                               ;   in Loop: Header=BB4_27 Depth=1
	s_add_i32 s24, s24, 1
	s_cmp_lg_u32 s24, s33
	s_cbranch_scc1 .LBB4_27
; %bb.30:
	buffer_store_dword v40, off, s[0:3], 0
	buffer_store_dword v26, off, s[0:3], 0 offset:4
	buffer_store_dword v12, off, s[0:3], 0 offset:8
	;; [unrolled: 1-line block ×15, first 2 shown]
	s_and_saveexec_b64 s[4:5], s[16:17]
	s_cbranch_execz .LBB4_32
; %bb.31:
	buffer_load_dword v4, off, s[0:3], 0 offset:1692 ; 4-byte Folded Reload
	buffer_load_dword v5, off, s[0:3], 0 offset:1696 ; 4-byte Folded Reload
	s_waitcnt vmcnt(0)
	v_mov_b32_e32 v5, 0
	v_mov_b32_e32 v3, s21
	v_mul_f32_e32 v2, 0.5, v40
	v_lshlrev_b64 v[0:1], 2, v[4:5]
	v_add_u32_e32 v4, s30, v4
	v_add_co_u32_e32 v0, vcc, s20, v0
	v_addc_co_u32_e32 v1, vcc, v3, v1, vcc
	global_store_dword v[0:1], v2, off
	v_lshlrev_b64 v[0:1], 2, v[4:5]
	v_mul_f32_e32 v2, 0.5, v26
	v_add_co_u32_e32 v0, vcc, s20, v0
	v_addc_co_u32_e32 v1, vcc, v3, v1, vcc
	v_add_u32_e32 v4, s30, v4
	global_store_dword v[0:1], v2, off
	v_lshlrev_b64 v[0:1], 2, v[4:5]
	v_mul_f32_e32 v2, 0.5, v12
	v_add_co_u32_e32 v0, vcc, s20, v0
	v_addc_co_u32_e32 v1, vcc, v3, v1, vcc
	v_add_u32_e32 v4, s30, v4
	;; [unrolled: 6-line block ×14, first 2 shown]
	global_store_dword v[0:1], v2, off
	v_lshlrev_b64 v[0:1], 2, v[4:5]
	v_mul_f32_e32 v2, 0.5, v41
	v_add_co_u32_e32 v0, vcc, s20, v0
	v_addc_co_u32_e32 v1, vcc, v3, v1, vcc
	global_store_dword v[0:1], v2, off
.LBB4_32:
	s_endpgm
	.section	.rodata,"a",@progbits
	.p2align	6, 0x0
	.amdhsa_kernel _ZL11fasten_mainILm16EEviiPK4AtomS2_PKfS4_S4_S4_S4_S4_PfPK8FFParamsi
		.amdhsa_group_segment_fixed_size 0
		.amdhsa_private_segment_fixed_size 1712
		.amdhsa_kernarg_size 352
		.amdhsa_user_sgpr_count 6
		.amdhsa_user_sgpr_private_segment_buffer 1
		.amdhsa_user_sgpr_dispatch_ptr 0
		.amdhsa_user_sgpr_queue_ptr 0
		.amdhsa_user_sgpr_kernarg_segment_ptr 1
		.amdhsa_user_sgpr_dispatch_id 0
		.amdhsa_user_sgpr_flat_scratch_init 0
		.amdhsa_user_sgpr_private_segment_size 0
		.amdhsa_uses_dynamic_stack 0
		.amdhsa_system_sgpr_private_segment_wavefront_offset 1
		.amdhsa_system_sgpr_workgroup_id_x 1
		.amdhsa_system_sgpr_workgroup_id_y 0
		.amdhsa_system_sgpr_workgroup_id_z 0
		.amdhsa_system_sgpr_workgroup_info 0
		.amdhsa_system_vgpr_workitem_id 0
		.amdhsa_next_free_vgpr 64
		.amdhsa_next_free_sgpr 52
		.amdhsa_reserve_vcc 1
		.amdhsa_reserve_flat_scratch 0
		.amdhsa_float_round_mode_32 0
		.amdhsa_float_round_mode_16_64 0
		.amdhsa_float_denorm_mode_32 3
		.amdhsa_float_denorm_mode_16_64 3
		.amdhsa_dx10_clamp 1
		.amdhsa_ieee_mode 1
		.amdhsa_fp16_overflow 0
		.amdhsa_exception_fp_ieee_invalid_op 0
		.amdhsa_exception_fp_denorm_src 0
		.amdhsa_exception_fp_ieee_div_zero 0
		.amdhsa_exception_fp_ieee_overflow 0
		.amdhsa_exception_fp_ieee_underflow 0
		.amdhsa_exception_fp_ieee_inexact 0
		.amdhsa_exception_int_div_zero 0
	.end_amdhsa_kernel
	.section	.text._ZL11fasten_mainILm16EEviiPK4AtomS2_PKfS4_S4_S4_S4_S4_PfPK8FFParamsi,"axG",@progbits,_ZL11fasten_mainILm16EEviiPK4AtomS2_PKfS4_S4_S4_S4_S4_PfPK8FFParamsi,comdat
.Lfunc_end4:
	.size	_ZL11fasten_mainILm16EEviiPK4AtomS2_PKfS4_S4_S4_S4_S4_PfPK8FFParamsi, .Lfunc_end4-_ZL11fasten_mainILm16EEviiPK4AtomS2_PKfS4_S4_S4_S4_S4_PfPK8FFParamsi
                                        ; -- End function
	.set _ZL11fasten_mainILm16EEviiPK4AtomS2_PKfS4_S4_S4_S4_S4_PfPK8FFParamsi.num_vgpr, 64
	.set _ZL11fasten_mainILm16EEviiPK4AtomS2_PKfS4_S4_S4_S4_S4_PfPK8FFParamsi.num_agpr, 0
	.set _ZL11fasten_mainILm16EEviiPK4AtomS2_PKfS4_S4_S4_S4_S4_PfPK8FFParamsi.numbered_sgpr, 52
	.set _ZL11fasten_mainILm16EEviiPK4AtomS2_PKfS4_S4_S4_S4_S4_PfPK8FFParamsi.num_named_barrier, 0
	.set _ZL11fasten_mainILm16EEviiPK4AtomS2_PKfS4_S4_S4_S4_S4_PfPK8FFParamsi.private_seg_size, 1712
	.set _ZL11fasten_mainILm16EEviiPK4AtomS2_PKfS4_S4_S4_S4_S4_PfPK8FFParamsi.uses_vcc, 1
	.set _ZL11fasten_mainILm16EEviiPK4AtomS2_PKfS4_S4_S4_S4_S4_PfPK8FFParamsi.uses_flat_scratch, 0
	.set _ZL11fasten_mainILm16EEviiPK4AtomS2_PKfS4_S4_S4_S4_S4_PfPK8FFParamsi.has_dyn_sized_stack, 0
	.set _ZL11fasten_mainILm16EEviiPK4AtomS2_PKfS4_S4_S4_S4_S4_PfPK8FFParamsi.has_recursion, 0
	.set _ZL11fasten_mainILm16EEviiPK4AtomS2_PKfS4_S4_S4_S4_S4_PfPK8FFParamsi.has_indirect_call, 0
	.section	.AMDGPU.csdata,"",@progbits
; Kernel info:
; codeLenInByte = 17344
; TotalNumSgprs: 56
; NumVgprs: 64
; ScratchSize: 1712
; MemoryBound: 0
; FloatMode: 240
; IeeeMode: 1
; LDSByteSize: 0 bytes/workgroup (compile time only)
; SGPRBlocks: 6
; VGPRBlocks: 15
; NumSGPRsForWavesPerEU: 56
; NumVGPRsForWavesPerEU: 64
; Occupancy: 4
; WaveLimiterHint : 1
; COMPUTE_PGM_RSRC2:SCRATCH_EN: 1
; COMPUTE_PGM_RSRC2:USER_SGPR: 6
; COMPUTE_PGM_RSRC2:TRAP_HANDLER: 0
; COMPUTE_PGM_RSRC2:TGID_X_EN: 1
; COMPUTE_PGM_RSRC2:TGID_Y_EN: 0
; COMPUTE_PGM_RSRC2:TGID_Z_EN: 0
; COMPUTE_PGM_RSRC2:TIDIG_COMP_CNT: 0
	.section	.text._ZL11fasten_mainILm32EEviiPK4AtomS2_PKfS4_S4_S4_S4_S4_PfPK8FFParamsi,"axG",@progbits,_ZL11fasten_mainILm32EEviiPK4AtomS2_PKfS4_S4_S4_S4_S4_PfPK8FFParamsi,comdat
	.globl	_ZL11fasten_mainILm32EEviiPK4AtomS2_PKfS4_S4_S4_S4_S4_PfPK8FFParamsi ; -- Begin function _ZL11fasten_mainILm32EEviiPK4AtomS2_PKfS4_S4_S4_S4_S4_PfPK8FFParamsi
	.p2align	8
	.type	_ZL11fasten_mainILm32EEviiPK4AtomS2_PKfS4_S4_S4_S4_S4_PfPK8FFParamsi,@function
_ZL11fasten_mainILm32EEviiPK4AtomS2_PKfS4_S4_S4_S4_S4_PfPK8FFParamsi: ; @_ZL11fasten_mainILm32EEviiPK4AtomS2_PKfS4_S4_S4_S4_S4_PfPK8FFParamsi
; %bb.0:
	s_add_u32 s0, s0, s7
	s_load_dword s7, s[4:5], 0x6c
	s_load_dword s8, s[4:5], 0x58
	s_load_dwordx16 s[36:51], s[4:5], 0x8
	s_addc_u32 s1, s1, 0
	s_mov_b32 s19, 0
	s_waitcnt lgkmcnt(0)
	s_and_b32 s30, s7, 0xffff
	s_mul_i32 s6, s6, s30
	v_lshl_add_u32 v2, s6, 5, v0
	v_mov_b32_e32 v1, v2
	v_cmp_gt_i32_e64 s[16:17], s8, v2
	buffer_store_dword v1, off, s[0:3], 0 offset:3212 ; 4-byte Folded Spill
	s_nop 0
	buffer_store_dword v2, off, s[0:3], 0 offset:3216 ; 4-byte Folded Spill
	s_sub_i32 s6, s8, 32
	v_mov_b32_e32 v0, s6
	s_lshl_b32 s18, s30, 2
	s_movk_i32 s20, 0x80
	s_brev_b32 s21, 18
	s_mov_b32 s22, 0xfe5163ab
	v_mov_b32_e32 v3, 0
	s_mov_b32 s23, 0x3c439041
	s_mov_b32 s24, 0xdb629599
	s_mov_b32 s25, 0xf534ddc0
	s_mov_b32 s26, 0xfc2757d1
	s_mov_b32 s27, 0x4e441529
	s_mov_b32 s28, 0xa2f9836e
	s_mov_b32 s29, 0x3fc90fda
	s_mov_b32 s31, 0x3f22f983
	s_mov_b32 s33, 0xbfc90fda
	v_mov_b32_e32 v4, 0xbe2aaa9d
	v_mov_b32_e32 v5, 0x3d2aabf7
	;; [unrolled: 1-line block ×3, first 2 shown]
	s_movk_i32 s34, 0x1f8
	v_not_b32_e32 v7, 63
	v_not_b32_e32 v8, 31
	v_mov_b32_e32 v9, 0x7fc00000
	v_cndmask_b32_e64 v0, v0, v2, s[16:17]
	v_ashrrev_i32_e32 v1, 31, v0
	v_lshlrev_b64 v[0:1], 2, v[0:1]
	s_branch .LBB5_2
.LBB5_1:                                ;   in Loop: Header=BB5_2 Depth=1
	s_or_b64 exec, exec, s[6:7]
	v_mul_f32_e32 v26, v27, v27
	v_mov_b32_e32 v28, 0x3c0881c4
	v_fmac_f32_e32 v28, 0xb94c1982, v26
	v_fma_f32 v28, v26, v28, v4
	v_mul_f32_e32 v28, v26, v28
	v_fmac_f32_e32 v27, v27, v28
	v_mov_b32_e32 v28, 0xbab64f3b
	v_fmac_f32_e32 v28, 0x37d75334, v26
	v_fma_f32 v28, v26, v28, v5
	v_fma_f32 v28, v26, v28, v6
	v_fma_f32 v26, v26, v28, 1.0
	v_and_b32_e32 v28, 1, v25
	v_lshlrev_b32_e32 v25, 30, v25
	v_cmp_eq_u32_e32 vcc, 0, v28
	v_and_b32_e32 v25, 0x80000000, v25
	v_xor_b32_e32 v23, v23, v22
	v_cndmask_b32_e32 v26, v26, v27, vcc
	v_xor_b32_e32 v23, v23, v25
	v_xor_b32_e32 v23, v23, v26
	v_cmp_class_f32_e64 vcc, v22, s34
	v_cndmask_b32_e32 v22, v9, v23, vcc
	v_mul_f32_e32 v23, v21, v21
	v_mov_b32_e32 v25, 0x3c0881c4
	v_fmac_f32_e32 v25, 0xb94c1982, v23
	v_fma_f32 v25, v23, v25, v4
	v_mul_f32_e32 v25, v23, v25
	v_fmac_f32_e32 v21, v21, v25
	v_mov_b32_e32 v25, 0xbab64f3b
	v_fmac_f32_e32 v25, 0x37d75334, v23
	v_fma_f32 v25, v23, v25, v5
	v_fma_f32 v25, v23, v25, v6
	v_fma_f32 v23, v23, v25, 1.0
	v_and_b32_e32 v25, 1, v20
	v_cmp_eq_u32_e64 s[6:7], 0, v25
	v_lshlrev_b32_e32 v20, 30, v20
	v_cndmask_b32_e64 v21, -v21, v23, s[6:7]
	v_and_b32_e32 v20, 0x80000000, v20
	v_xor_b32_e32 v20, v20, v21
	v_mul_f32_e32 v21, v19, v19
	v_mov_b32_e32 v23, 0x3c0881c4
	v_fmac_f32_e32 v23, 0xb94c1982, v21
	v_fma_f32 v23, v21, v23, v4
	v_mul_f32_e32 v23, v21, v23
	v_fmac_f32_e32 v19, v19, v23
	v_mov_b32_e32 v23, 0xbab64f3b
	v_fmac_f32_e32 v23, 0x37d75334, v21
	v_fma_f32 v23, v21, v23, v5
	v_fma_f32 v23, v21, v23, v6
	v_fma_f32 v21, v21, v23, 1.0
	v_and_b32_e32 v23, 1, v18
	v_lshlrev_b32_e32 v18, 30, v18
	v_cmp_class_f32_e64 s[6:7], v16, s34
	v_cmp_eq_u32_e64 s[8:9], 0, v23
	v_and_b32_e32 v18, 0x80000000, v18
	v_xor_b32_e32 v16, v17, v16
	v_cndmask_b32_e64 v19, v21, v19, s[8:9]
	v_xor_b32_e32 v16, v16, v18
	v_xor_b32_e32 v16, v16, v19
	v_cndmask_b32_e64 v20, v9, v20, s[6:7]
	v_cndmask_b32_e64 v16, v9, v16, s[6:7]
	v_mov_b32_e32 v18, s47
	v_add_co_u32_e64 v17, s[6:7], s46, v0
	v_addc_co_u32_e64 v18, s[6:7], v18, v1, s[6:7]
	v_mul_f32_e32 v19, v15, v15
	global_load_dword v21, v[17:18], off
	v_mov_b32_e32 v17, 0x3c0881c4
	v_fmac_f32_e32 v17, 0xb94c1982, v19
	v_fma_f32 v23, v19, v17, v4
	v_mov_b32_e32 v18, s49
	v_add_co_u32_e64 v17, s[6:7], s48, v0
	v_addc_co_u32_e64 v18, s[6:7], v18, v1, s[6:7]
	global_load_dword v25, v[17:18], off
	v_mov_b32_e32 v18, s51
	v_add_co_u32_e64 v17, s[6:7], s50, v0
	v_addc_co_u32_e64 v18, s[6:7], v18, v1, s[6:7]
	global_load_dword v17, v[17:18], off
	v_mov_b32_e32 v18, 0xbab64f3b
	v_fmac_f32_e32 v18, 0x37d75334, v19
	v_fma_f32 v18, v19, v18, v5
	v_fma_f32 v18, v19, v18, v6
	v_mul_f32_e32 v23, v19, v23
	v_fma_f32 v18, v19, v18, 1.0
	v_and_b32_e32 v19, 1, v14
	v_fmac_f32_e32 v15, v15, v23
	v_cmp_eq_u32_e64 s[6:7], 0, v19
	v_lshlrev_b32_e32 v14, 30, v14
	v_cndmask_b32_e64 v15, -v15, v18, s[6:7]
	v_and_b32_e32 v14, 0x80000000, v14
	v_xor_b32_e32 v14, v14, v15
	v_mul_f32_e32 v15, v13, v13
	v_mov_b32_e32 v18, 0x3c0881c4
	v_fmac_f32_e32 v18, 0xb94c1982, v15
	v_fma_f32 v18, v15, v18, v4
	v_mul_f32_e32 v18, v15, v18
	v_fmac_f32_e32 v13, v13, v18
	v_mov_b32_e32 v18, 0xbab64f3b
	v_fmac_f32_e32 v18, 0x37d75334, v15
	v_fma_f32 v18, v15, v18, v5
	v_fma_f32 v18, v15, v18, v6
	v_fma_f32 v15, v15, v18, 1.0
	v_and_b32_e32 v18, 1, v12
	v_lshlrev_b32_e32 v12, 30, v12
	v_cmp_class_f32_e64 s[6:7], v10, s34
	v_and_b32_e32 v12, 0x80000000, v12
	v_xor_b32_e32 v10, v11, v10
	v_xor_b32_e32 v10, v10, v12
	v_mul_f32_e32 v11, v24, v24
	v_mov_b32_e32 v12, 0x3c0881c4
	v_fmac_f32_e32 v12, 0xb94c1982, v11
	v_fma_f32 v12, v11, v12, v4
	v_mul_f32_e32 v12, v11, v12
	v_fmac_f32_e32 v24, v24, v12
	v_mov_b32_e32 v12, 0xbab64f3b
	v_fmac_f32_e32 v12, 0x37d75334, v11
	v_cmp_eq_u32_e64 s[8:9], 0, v18
	v_fma_f32 v12, v11, v12, v5
	v_cndmask_b32_e64 v13, v15, v13, s[8:9]
	v_fma_f32 v12, v11, v12, v6
	v_xor_b32_e32 v10, v10, v13
	v_fma_f32 v11, v11, v12, 1.0
	v_and_b32_e32 v12, 1, v2
	v_cndmask_b32_e64 v14, v9, v14, s[6:7]
	v_cndmask_b32_e64 v10, v9, v10, s[6:7]
	v_cmp_eq_u32_e64 s[6:7], 0, v12
	v_lshlrev_b32_e32 v2, 30, v2
	v_cndmask_b32_e64 v11, -v24, v11, s[6:7]
	v_and_b32_e32 v2, 0x80000000, v2
	v_xor_b32_e32 v2, v2, v11
	v_cndmask_b32_e32 v2, v9, v2, vcc
	v_mul_f32_e32 v11, v20, v2
	v_mov_b32_e32 v12, s20
	buffer_store_dword v11, v12, s[0:3], 0 offen
	v_mul_f32_e32 v11, v10, v16
	v_mul_f32_e32 v13, v14, v22
	v_fma_f32 v13, v11, v2, -v13
	buffer_store_dword v13, v12, s[0:3], 0 offen offset:4
	v_mul_f32_e32 v13, v14, v16
	v_mul_f32_e32 v15, v13, v2
	v_fmac_f32_e32 v15, v10, v22
	buffer_store_dword v15, v12, s[0:3], 0 offen offset:8
	s_waitcnt vmcnt(5)
	buffer_store_dword v21, v12, s[0:3], 0 offen offset:12
	v_mul_f32_e32 v15, v20, v22
	buffer_store_dword v15, v12, s[0:3], 0 offen offset:16
	v_mul_f32_e32 v15, v14, v2
	v_mul_f32_e32 v2, v10, v2
	v_fmac_f32_e32 v15, v11, v22
	v_fma_f32 v2, v13, v22, -v2
	buffer_store_dword v15, v12, s[0:3], 0 offen offset:20
	buffer_store_dword v2, v12, s[0:3], 0 offen offset:24
	s_waitcnt vmcnt(8)
	buffer_store_dword v25, v12, s[0:3], 0 offen offset:28
	v_xor_b32_e32 v2, 0x80000000, v16
	buffer_store_dword v2, v12, s[0:3], 0 offen offset:32
	v_mul_f32_e32 v2, v10, v20
	buffer_store_dword v2, v12, s[0:3], 0 offen offset:36
	v_mul_f32_e32 v2, v14, v20
	buffer_store_dword v2, v12, s[0:3], 0 offen offset:40
	s_waitcnt vmcnt(11)
	buffer_store_dword v17, v12, s[0:3], 0 offen offset:44
	v_mov_b32_e32 v2, s19
	s_add_i32 s19, s19, 4
	s_add_u32 s40, s40, s18
	s_addc_u32 s41, s41, 0
	s_add_u32 s42, s42, s18
	s_addc_u32 s43, s43, 0
	;; [unrolled: 2-line block ×6, first 2 shown]
	s_add_i32 s20, s20, 48
	s_cmpk_lg_i32 s19, 0x80
	buffer_store_dword v3, v2, s[0:3], 0 offen
	s_cbranch_scc0 .LBB5_26
.LBB5_2:                                ; =>This Inner Loop Header: Depth=1
	v_mov_b32_e32 v2, s41
	v_add_co_u32_e32 v10, vcc, s40, v0
	v_addc_co_u32_e32 v11, vcc, v2, v1, vcc
	global_load_dword v10, v[10:11], off
                                        ; implicit-def: $vgpr13
	s_waitcnt vmcnt(0)
	v_and_b32_e32 v11, 0x7fffffff, v10
	v_lshrrev_b32_e32 v2, 23, v11
	v_and_b32_e32 v12, 0x7fffff, v11
	v_cmp_nlt_f32_e64 s[12:13], |v10|, s21
	v_add_u32_e32 v17, 0xffffff88, v2
	v_or_b32_e32 v16, 0x800000, v12
                                        ; implicit-def: $vgpr12
	s_and_saveexec_b64 s[6:7], s[12:13]
	s_xor_b64 s[14:15], exec, s[6:7]
	s_cbranch_execz .LBB5_4
; %bb.3:                                ;   in Loop: Header=BB5_2 Depth=1
	v_mad_u64_u32 v[12:13], s[6:7], v16, s22, 0
	v_cmp_lt_u32_e32 vcc, 63, v17
	v_mov_b32_e32 v2, v13
	v_mad_u64_u32 v[13:14], s[6:7], v16, s23, v[2:3]
	v_mov_b32_e32 v2, v14
	v_mad_u64_u32 v[14:15], s[6:7], v16, s24, v[2:3]
	;; [unrolled: 2-line block ×3, first 2 shown]
	v_cndmask_b32_e32 v2, 0, v7, vcc
	v_add_u32_e32 v15, v2, v17
	v_mov_b32_e32 v2, v19
	v_mad_u64_u32 v[19:20], s[6:7], v16, s26, v[2:3]
	v_cmp_lt_u32_e64 s[6:7], 31, v15
	v_cndmask_b32_e64 v2, 0, v8, s[6:7]
	v_add_u32_e32 v15, v2, v15
	v_mov_b32_e32 v2, v20
	v_mad_u64_u32 v[20:21], s[8:9], v16, s27, v[2:3]
	v_cmp_lt_u32_e64 s[8:9], 31, v15
	v_cndmask_b32_e64 v2, 0, v8, s[8:9]
	v_add_u32_e32 v15, v2, v15
	v_mov_b32_e32 v2, v21
	v_mad_u64_u32 v[21:22], s[10:11], v16, s28, v[2:3]
	v_cndmask_b32_e32 v2, v19, v14, vcc
	v_cndmask_b32_e32 v23, v20, v18, vcc
	;; [unrolled: 1-line block ×4, first 2 shown]
	v_cndmask_b32_e64 v24, v23, v2, s[6:7]
	v_cndmask_b32_e64 v21, v19, v23, s[6:7]
	v_cndmask_b32_e64 v19, v20, v19, s[6:7]
	v_cndmask_b32_e32 v13, v18, v13, vcc
	v_cndmask_b32_e64 v19, v19, v21, s[8:9]
	v_cndmask_b32_e64 v20, v21, v24, s[8:9]
	v_sub_u32_e32 v21, 32, v15
	v_cndmask_b32_e64 v2, v2, v13, s[6:7]
	v_alignbit_b32 v22, v19, v20, v21
	v_cmp_eq_u32_e64 s[10:11], 0, v15
	v_cndmask_b32_e64 v18, v24, v2, s[8:9]
	v_cndmask_b32_e64 v15, v22, v19, s[10:11]
	v_alignbit_b32 v19, v20, v18, v21
	v_cndmask_b32_e32 v12, v14, v12, vcc
	v_cndmask_b32_e64 v19, v19, v20, s[10:11]
	v_bfe_u32 v23, v15, 29, 1
	v_cndmask_b32_e64 v12, v13, v12, s[6:7]
	v_alignbit_b32 v20, v15, v19, 30
	v_sub_u32_e32 v24, 0, v23
	v_cndmask_b32_e64 v2, v2, v12, s[8:9]
	v_xor_b32_e32 v20, v20, v24
	v_alignbit_b32 v12, v18, v2, v21
	v_cndmask_b32_e64 v12, v12, v18, s[10:11]
	v_ffbh_u32_e32 v14, v20
	v_alignbit_b32 v13, v19, v12, 30
	v_min_u32_e32 v14, 32, v14
	v_alignbit_b32 v2, v12, v2, 30
	v_xor_b32_e32 v13, v13, v24
	v_sub_u32_e32 v18, 31, v14
	v_xor_b32_e32 v2, v2, v24
	v_alignbit_b32 v19, v20, v13, v18
	v_alignbit_b32 v2, v13, v2, v18
	;; [unrolled: 1-line block ×3, first 2 shown]
	v_ffbh_u32_e32 v13, v12
	v_min_u32_e32 v13, 32, v13
	v_lshrrev_b32_e32 v22, 29, v15
	v_not_b32_e32 v18, v13
	v_alignbit_b32 v2, v12, v2, v18
	v_lshlrev_b32_e32 v12, 31, v22
	v_or_b32_e32 v18, 0x33000000, v12
	v_add_lshl_u32 v13, v13, v14, 23
	v_lshrrev_b32_e32 v2, 9, v2
	v_sub_u32_e32 v13, v18, v13
	v_or_b32_e32 v12, 0.5, v12
	v_lshlrev_b32_e32 v14, 23, v14
	v_or_b32_e32 v2, v13, v2
	v_lshrrev_b32_e32 v13, 9, v19
	v_sub_u32_e32 v12, v12, v14
	v_or_b32_e32 v12, v13, v12
	v_mul_f32_e32 v13, 0x3fc90fda, v12
	v_fma_f32 v14, v12, s29, -v13
	v_fmac_f32_e32 v14, 0x33a22168, v12
	v_fmac_f32_e32 v14, 0x3fc90fda, v2
	v_lshrrev_b32_e32 v2, 30, v15
	v_add_f32_e32 v13, v13, v14
	v_add_u32_e32 v12, v23, v2
.LBB5_4:                                ;   in Loop: Header=BB5_2 Depth=1
	s_or_saveexec_b64 s[6:7], s[14:15]
	v_mul_f32_e64 v2, |v10|, s31
	v_rndne_f32_e32 v2, v2
	s_xor_b64 exec, exec, s[6:7]
; %bb.5:                                ;   in Loop: Header=BB5_2 Depth=1
	v_cvt_i32_f32_e32 v12, v2
	v_fma_f32 v13, v2, s33, |v10|
	v_fmac_f32_e32 v13, 0xb3a22168, v2
	v_fmac_f32_e32 v13, 0xa7c234c4, v2
; %bb.6:                                ;   in Loop: Header=BB5_2 Depth=1
	s_or_b64 exec, exec, s[6:7]
                                        ; implicit-def: $vgpr14
                                        ; implicit-def: $vgpr15
	s_and_saveexec_b64 s[6:7], s[12:13]
	s_xor_b64 s[12:13], exec, s[6:7]
	s_cbranch_execz .LBB5_8
; %bb.7:                                ;   in Loop: Header=BB5_2 Depth=1
	v_mad_u64_u32 v[14:15], s[6:7], v16, s22, 0
	v_cmp_lt_u32_e32 vcc, 63, v17
	v_mov_b32_e32 v2, v15
	v_mad_u64_u32 v[18:19], s[6:7], v16, s23, v[2:3]
	v_mov_b32_e32 v2, v19
	v_mad_u64_u32 v[19:20], s[6:7], v16, s24, v[2:3]
	;; [unrolled: 2-line block ×3, first 2 shown]
	v_cndmask_b32_e32 v2, 0, v7, vcc
	v_add_u32_e32 v15, v2, v17
	v_mov_b32_e32 v2, v21
	v_mad_u64_u32 v[21:22], s[6:7], v16, s26, v[2:3]
	v_cmp_lt_u32_e64 s[6:7], 31, v15
	v_cndmask_b32_e64 v2, 0, v8, s[6:7]
	v_add_u32_e32 v15, v2, v15
	v_mov_b32_e32 v2, v22
	v_mad_u64_u32 v[22:23], s[8:9], v16, s27, v[2:3]
	v_cmp_lt_u32_e64 s[8:9], 31, v15
	v_cndmask_b32_e64 v2, 0, v8, s[8:9]
	v_add_u32_e32 v17, v2, v15
	v_mov_b32_e32 v2, v23
	v_mad_u64_u32 v[15:16], s[10:11], v16, s28, v[2:3]
	v_cndmask_b32_e32 v2, v21, v19, vcc
	v_cndmask_b32_e32 v23, v22, v20, vcc
	;; [unrolled: 1-line block ×4, first 2 shown]
	v_cndmask_b32_e64 v24, v23, v2, s[6:7]
	v_cndmask_b32_e64 v21, v15, v23, s[6:7]
	;; [unrolled: 1-line block ×5, first 2 shown]
	v_sub_u32_e32 v21, 32, v17
	v_alignbit_b32 v22, v15, v16, v21
	v_cmp_eq_u32_e64 s[10:11], 0, v17
	v_cndmask_b32_e64 v17, v22, v15, s[10:11]
	v_cndmask_b32_e32 v15, v20, v18, vcc
	v_cndmask_b32_e64 v2, v2, v15, s[6:7]
	v_cndmask_b32_e64 v18, v24, v2, s[8:9]
	v_cndmask_b32_e32 v14, v19, v14, vcc
	v_alignbit_b32 v20, v16, v18, v21
	v_cndmask_b32_e64 v14, v15, v14, s[6:7]
	v_cndmask_b32_e64 v16, v20, v16, s[10:11]
	v_bfe_u32 v23, v17, 29, 1
	v_cndmask_b32_e64 v2, v2, v14, s[8:9]
	v_alignbit_b32 v20, v17, v16, 30
	v_sub_u32_e32 v24, 0, v23
	v_alignbit_b32 v14, v18, v2, v21
	v_xor_b32_e32 v20, v20, v24
	v_cndmask_b32_e64 v14, v14, v18, s[10:11]
	v_alignbit_b32 v15, v16, v14, 30
	v_ffbh_u32_e32 v16, v20
	v_min_u32_e32 v16, 32, v16
	v_alignbit_b32 v2, v14, v2, 30
	v_xor_b32_e32 v15, v15, v24
	v_sub_u32_e32 v18, 31, v16
	v_xor_b32_e32 v2, v2, v24
	v_alignbit_b32 v19, v20, v15, v18
	v_alignbit_b32 v2, v15, v2, v18
	;; [unrolled: 1-line block ×3, first 2 shown]
	v_ffbh_u32_e32 v15, v14
	v_min_u32_e32 v15, 32, v15
	v_lshrrev_b32_e32 v22, 29, v17
	v_not_b32_e32 v18, v15
	v_alignbit_b32 v2, v14, v2, v18
	v_lshlrev_b32_e32 v14, 31, v22
	v_or_b32_e32 v18, 0x33000000, v14
	v_add_lshl_u32 v15, v15, v16, 23
	v_lshrrev_b32_e32 v2, 9, v2
	v_sub_u32_e32 v15, v18, v15
	v_or_b32_e32 v14, 0.5, v14
	v_lshlrev_b32_e32 v16, 23, v16
	v_or_b32_e32 v2, v15, v2
	v_lshrrev_b32_e32 v15, 9, v19
	v_sub_u32_e32 v14, v14, v16
	v_or_b32_e32 v14, v15, v14
	v_mul_f32_e32 v15, 0x3fc90fda, v14
	v_fma_f32 v16, v14, s29, -v15
	v_fmac_f32_e32 v16, 0x33a22168, v14
	v_fmac_f32_e32 v16, 0x3fc90fda, v2
	v_lshrrev_b32_e32 v2, 30, v17
	v_add_f32_e32 v15, v15, v16
	v_add_u32_e32 v14, v23, v2
                                        ; implicit-def: $vgpr2
	s_andn2_saveexec_b64 s[6:7], s[12:13]
	s_cbranch_execnz .LBB5_9
	s_branch .LBB5_10
.LBB5_8:                                ;   in Loop: Header=BB5_2 Depth=1
	s_andn2_saveexec_b64 s[6:7], s[12:13]
.LBB5_9:                                ;   in Loop: Header=BB5_2 Depth=1
	v_cvt_i32_f32_e32 v14, v2
	v_fma_f32 v15, v2, s33, |v10|
	v_fmac_f32_e32 v15, 0xb3a22168, v2
	v_fmac_f32_e32 v15, 0xa7c234c4, v2
.LBB5_10:                               ;   in Loop: Header=BB5_2 Depth=1
	s_or_b64 exec, exec, s[6:7]
	v_mov_b32_e32 v2, s43
	v_add_co_u32_e32 v16, vcc, s42, v0
	v_addc_co_u32_e32 v17, vcc, v2, v1, vcc
	global_load_dword v16, v[16:17], off
                                        ; implicit-def: $vgpr19
	s_waitcnt vmcnt(0)
	v_and_b32_e32 v17, 0x7fffffff, v16
	v_lshrrev_b32_e32 v2, 23, v17
	v_and_b32_e32 v18, 0x7fffff, v17
	v_cmp_nlt_f32_e64 s[12:13], |v16|, s21
	v_add_u32_e32 v23, 0xffffff88, v2
	v_or_b32_e32 v22, 0x800000, v18
                                        ; implicit-def: $vgpr18
	s_and_saveexec_b64 s[6:7], s[12:13]
	s_xor_b64 s[14:15], exec, s[6:7]
	s_cbranch_execz .LBB5_12
; %bb.11:                               ;   in Loop: Header=BB5_2 Depth=1
	v_mad_u64_u32 v[18:19], s[6:7], v22, s22, 0
	v_cmp_lt_u32_e32 vcc, 63, v23
	v_mov_b32_e32 v2, v19
	v_mad_u64_u32 v[19:20], s[6:7], v22, s23, v[2:3]
	v_mov_b32_e32 v2, v20
	v_mad_u64_u32 v[20:21], s[6:7], v22, s24, v[2:3]
	;; [unrolled: 2-line block ×3, first 2 shown]
	v_cndmask_b32_e32 v2, 0, v7, vcc
	v_add_u32_e32 v21, v2, v23
	v_mov_b32_e32 v2, v25
	v_mad_u64_u32 v[25:26], s[6:7], v22, s26, v[2:3]
	v_cmp_lt_u32_e64 s[6:7], 31, v21
	v_cndmask_b32_e64 v2, 0, v8, s[6:7]
	v_add_u32_e32 v21, v2, v21
	v_mov_b32_e32 v2, v26
	v_mad_u64_u32 v[26:27], s[8:9], v22, s27, v[2:3]
	v_cmp_lt_u32_e64 s[8:9], 31, v21
	v_cndmask_b32_e64 v2, 0, v8, s[8:9]
	v_add_u32_e32 v21, v2, v21
	v_mov_b32_e32 v2, v27
	v_mad_u64_u32 v[27:28], s[10:11], v22, s28, v[2:3]
	v_cndmask_b32_e32 v2, v25, v20, vcc
	v_cndmask_b32_e32 v29, v26, v24, vcc
	v_cndmask_b32_e32 v25, v27, v25, vcc
	v_cndmask_b32_e32 v26, v28, v26, vcc
	v_cndmask_b32_e64 v30, v29, v2, s[6:7]
	v_cndmask_b32_e64 v27, v25, v29, s[6:7]
	;; [unrolled: 1-line block ×3, first 2 shown]
	v_cndmask_b32_e32 v19, v24, v19, vcc
	v_cndmask_b32_e64 v25, v25, v27, s[8:9]
	v_cndmask_b32_e64 v26, v27, v30, s[8:9]
	v_sub_u32_e32 v27, 32, v21
	v_cndmask_b32_e64 v2, v2, v19, s[6:7]
	v_alignbit_b32 v28, v25, v26, v27
	v_cmp_eq_u32_e64 s[10:11], 0, v21
	v_cndmask_b32_e64 v24, v30, v2, s[8:9]
	v_cndmask_b32_e64 v21, v28, v25, s[10:11]
	v_alignbit_b32 v25, v26, v24, v27
	v_cndmask_b32_e32 v18, v20, v18, vcc
	v_cndmask_b32_e64 v25, v25, v26, s[10:11]
	v_bfe_u32 v29, v21, 29, 1
	v_cndmask_b32_e64 v18, v19, v18, s[6:7]
	v_alignbit_b32 v26, v21, v25, 30
	v_sub_u32_e32 v30, 0, v29
	v_cndmask_b32_e64 v2, v2, v18, s[8:9]
	v_xor_b32_e32 v26, v26, v30
	v_alignbit_b32 v18, v24, v2, v27
	v_cndmask_b32_e64 v18, v18, v24, s[10:11]
	v_ffbh_u32_e32 v20, v26
	v_alignbit_b32 v19, v25, v18, 30
	v_min_u32_e32 v20, 32, v20
	v_alignbit_b32 v2, v18, v2, 30
	v_xor_b32_e32 v19, v19, v30
	v_sub_u32_e32 v24, 31, v20
	v_xor_b32_e32 v2, v2, v30
	v_alignbit_b32 v25, v26, v19, v24
	v_alignbit_b32 v2, v19, v2, v24
	;; [unrolled: 1-line block ×3, first 2 shown]
	v_ffbh_u32_e32 v19, v18
	v_min_u32_e32 v19, 32, v19
	v_lshrrev_b32_e32 v28, 29, v21
	v_not_b32_e32 v24, v19
	v_alignbit_b32 v2, v18, v2, v24
	v_lshlrev_b32_e32 v18, 31, v28
	v_or_b32_e32 v24, 0x33000000, v18
	v_add_lshl_u32 v19, v19, v20, 23
	v_lshrrev_b32_e32 v2, 9, v2
	v_sub_u32_e32 v19, v24, v19
	v_or_b32_e32 v18, 0.5, v18
	v_lshlrev_b32_e32 v20, 23, v20
	v_or_b32_e32 v2, v19, v2
	v_lshrrev_b32_e32 v19, 9, v25
	v_sub_u32_e32 v18, v18, v20
	v_or_b32_e32 v18, v19, v18
	v_mul_f32_e32 v19, 0x3fc90fda, v18
	v_fma_f32 v20, v18, s29, -v19
	v_fmac_f32_e32 v20, 0x33a22168, v18
	v_fmac_f32_e32 v20, 0x3fc90fda, v2
	v_lshrrev_b32_e32 v2, 30, v21
	v_add_f32_e32 v19, v19, v20
	v_add_u32_e32 v18, v29, v2
.LBB5_12:                               ;   in Loop: Header=BB5_2 Depth=1
	s_or_saveexec_b64 s[6:7], s[14:15]
	v_mul_f32_e64 v2, |v16|, s31
	v_rndne_f32_e32 v2, v2
	s_xor_b64 exec, exec, s[6:7]
; %bb.13:                               ;   in Loop: Header=BB5_2 Depth=1
	v_cvt_i32_f32_e32 v18, v2
	v_fma_f32 v19, v2, s33, |v16|
	v_fmac_f32_e32 v19, 0xb3a22168, v2
	v_fmac_f32_e32 v19, 0xa7c234c4, v2
; %bb.14:                               ;   in Loop: Header=BB5_2 Depth=1
	s_or_b64 exec, exec, s[6:7]
                                        ; implicit-def: $vgpr20
                                        ; implicit-def: $vgpr21
	s_and_saveexec_b64 s[6:7], s[12:13]
	s_xor_b64 s[12:13], exec, s[6:7]
	s_cbranch_execz .LBB5_16
; %bb.15:                               ;   in Loop: Header=BB5_2 Depth=1
	v_mad_u64_u32 v[20:21], s[6:7], v22, s22, 0
	v_cmp_lt_u32_e32 vcc, 63, v23
	v_mov_b32_e32 v2, v21
	v_mad_u64_u32 v[24:25], s[6:7], v22, s23, v[2:3]
	v_mov_b32_e32 v2, v25
	v_mad_u64_u32 v[25:26], s[6:7], v22, s24, v[2:3]
	;; [unrolled: 2-line block ×3, first 2 shown]
	v_cndmask_b32_e32 v2, 0, v7, vcc
	v_add_u32_e32 v21, v2, v23
	v_mov_b32_e32 v2, v27
	v_mad_u64_u32 v[27:28], s[6:7], v22, s26, v[2:3]
	v_cmp_lt_u32_e64 s[6:7], 31, v21
	v_cndmask_b32_e64 v2, 0, v8, s[6:7]
	v_add_u32_e32 v21, v2, v21
	v_mov_b32_e32 v2, v28
	v_mad_u64_u32 v[28:29], s[8:9], v22, s27, v[2:3]
	v_cmp_lt_u32_e64 s[8:9], 31, v21
	v_cndmask_b32_e64 v2, 0, v8, s[8:9]
	v_add_u32_e32 v23, v2, v21
	v_mov_b32_e32 v2, v29
	v_mad_u64_u32 v[21:22], s[10:11], v22, s28, v[2:3]
	v_cndmask_b32_e32 v2, v27, v25, vcc
	v_cndmask_b32_e32 v29, v28, v26, vcc
	;; [unrolled: 1-line block ×4, first 2 shown]
	v_cndmask_b32_e64 v30, v29, v2, s[6:7]
	v_cndmask_b32_e64 v27, v21, v29, s[6:7]
	;; [unrolled: 1-line block ×5, first 2 shown]
	v_sub_u32_e32 v27, 32, v23
	v_alignbit_b32 v28, v21, v22, v27
	v_cmp_eq_u32_e64 s[10:11], 0, v23
	v_cndmask_b32_e64 v23, v28, v21, s[10:11]
	v_cndmask_b32_e32 v21, v26, v24, vcc
	v_cndmask_b32_e64 v2, v2, v21, s[6:7]
	v_cndmask_b32_e64 v24, v30, v2, s[8:9]
	v_cndmask_b32_e32 v20, v25, v20, vcc
	v_alignbit_b32 v26, v22, v24, v27
	v_cndmask_b32_e64 v20, v21, v20, s[6:7]
	v_cndmask_b32_e64 v22, v26, v22, s[10:11]
	v_bfe_u32 v29, v23, 29, 1
	v_cndmask_b32_e64 v2, v2, v20, s[8:9]
	v_alignbit_b32 v26, v23, v22, 30
	v_sub_u32_e32 v30, 0, v29
	v_alignbit_b32 v20, v24, v2, v27
	v_xor_b32_e32 v26, v26, v30
	v_cndmask_b32_e64 v20, v20, v24, s[10:11]
	v_alignbit_b32 v21, v22, v20, 30
	v_ffbh_u32_e32 v22, v26
	v_min_u32_e32 v22, 32, v22
	v_alignbit_b32 v2, v20, v2, 30
	v_xor_b32_e32 v21, v21, v30
	v_sub_u32_e32 v24, 31, v22
	v_xor_b32_e32 v2, v2, v30
	v_alignbit_b32 v25, v26, v21, v24
	v_alignbit_b32 v2, v21, v2, v24
	;; [unrolled: 1-line block ×3, first 2 shown]
	v_ffbh_u32_e32 v21, v20
	v_min_u32_e32 v21, 32, v21
	v_lshrrev_b32_e32 v28, 29, v23
	v_not_b32_e32 v24, v21
	v_alignbit_b32 v2, v20, v2, v24
	v_lshlrev_b32_e32 v20, 31, v28
	v_or_b32_e32 v24, 0x33000000, v20
	v_add_lshl_u32 v21, v21, v22, 23
	v_lshrrev_b32_e32 v2, 9, v2
	v_sub_u32_e32 v21, v24, v21
	v_or_b32_e32 v20, 0.5, v20
	v_lshlrev_b32_e32 v22, 23, v22
	v_or_b32_e32 v2, v21, v2
	v_lshrrev_b32_e32 v21, 9, v25
	v_sub_u32_e32 v20, v20, v22
	v_or_b32_e32 v20, v21, v20
	v_mul_f32_e32 v21, 0x3fc90fda, v20
	v_fma_f32 v22, v20, s29, -v21
	v_fmac_f32_e32 v22, 0x33a22168, v20
	v_fmac_f32_e32 v22, 0x3fc90fda, v2
	v_lshrrev_b32_e32 v2, 30, v23
	v_add_f32_e32 v21, v21, v22
	v_add_u32_e32 v20, v29, v2
                                        ; implicit-def: $vgpr2
	s_andn2_saveexec_b64 s[6:7], s[12:13]
	s_cbranch_execnz .LBB5_17
	s_branch .LBB5_18
.LBB5_16:                               ;   in Loop: Header=BB5_2 Depth=1
	s_andn2_saveexec_b64 s[6:7], s[12:13]
.LBB5_17:                               ;   in Loop: Header=BB5_2 Depth=1
	v_cvt_i32_f32_e32 v20, v2
	v_fma_f32 v21, v2, s33, |v16|
	v_fmac_f32_e32 v21, 0xb3a22168, v2
	v_fmac_f32_e32 v21, 0xa7c234c4, v2
.LBB5_18:                               ;   in Loop: Header=BB5_2 Depth=1
	s_or_b64 exec, exec, s[6:7]
	v_mov_b32_e32 v2, s45
	v_add_co_u32_e32 v22, vcc, s44, v0
	v_addc_co_u32_e32 v23, vcc, v2, v1, vcc
	global_load_dword v22, v[22:23], off
                                        ; implicit-def: $vgpr25
                                        ; implicit-def: $vgpr27
	s_waitcnt vmcnt(0)
	v_and_b32_e32 v23, 0x7fffffff, v22
	v_lshrrev_b32_e32 v2, 23, v23
	v_and_b32_e32 v24, 0x7fffff, v23
	v_cmp_nlt_f32_e64 s[12:13], |v22|, s21
	v_add_u32_e32 v28, 0xffffff88, v2
	v_or_b32_e32 v26, 0x800000, v24
	s_and_saveexec_b64 s[6:7], s[12:13]
	s_xor_b64 s[14:15], exec, s[6:7]
	s_cbranch_execz .LBB5_20
; %bb.19:                               ;   in Loop: Header=BB5_2 Depth=1
	v_mad_u64_u32 v[24:25], s[6:7], v26, s22, 0
	v_cmp_lt_u32_e32 vcc, 63, v28
	v_mov_b32_e32 v2, v25
	v_mad_u64_u32 v[29:30], s[6:7], v26, s23, v[2:3]
	v_mov_b32_e32 v2, v30
	v_mad_u64_u32 v[30:31], s[6:7], v26, s24, v[2:3]
	;; [unrolled: 2-line block ×3, first 2 shown]
	v_cndmask_b32_e32 v2, 0, v7, vcc
	v_add_u32_e32 v25, v2, v28
	v_mov_b32_e32 v2, v32
	v_mad_u64_u32 v[32:33], s[6:7], v26, s26, v[2:3]
	v_cmp_lt_u32_e64 s[6:7], 31, v25
	v_cndmask_b32_e64 v2, 0, v8, s[6:7]
	v_add_u32_e32 v25, v2, v25
	v_mov_b32_e32 v2, v33
	v_mad_u64_u32 v[33:34], s[8:9], v26, s27, v[2:3]
	v_cmp_lt_u32_e64 s[8:9], 31, v25
	v_cndmask_b32_e64 v2, 0, v8, s[8:9]
	v_add_u32_e32 v25, v2, v25
	v_mov_b32_e32 v2, v34
	v_mad_u64_u32 v[34:35], s[10:11], v26, s28, v[2:3]
	v_cndmask_b32_e32 v2, v32, v30, vcc
	v_cndmask_b32_e32 v27, v33, v31, vcc
	;; [unrolled: 1-line block ×4, first 2 shown]
	v_cndmask_b32_e64 v36, v27, v2, s[6:7]
	v_cndmask_b32_e64 v27, v32, v27, s[6:7]
	;; [unrolled: 1-line block ×3, first 2 shown]
	v_cndmask_b32_e32 v29, v31, v29, vcc
	v_cndmask_b32_e64 v32, v32, v27, s[8:9]
	v_cndmask_b32_e64 v27, v27, v36, s[8:9]
	v_sub_u32_e32 v33, 32, v25
	v_cndmask_b32_e64 v2, v2, v29, s[6:7]
	v_alignbit_b32 v34, v32, v27, v33
	v_cmp_eq_u32_e64 s[10:11], 0, v25
	v_cndmask_b32_e64 v31, v36, v2, s[8:9]
	v_cndmask_b32_e64 v25, v34, v32, s[10:11]
	v_alignbit_b32 v32, v27, v31, v33
	v_cndmask_b32_e32 v24, v30, v24, vcc
	v_cndmask_b32_e64 v27, v32, v27, s[10:11]
	v_bfe_u32 v35, v25, 29, 1
	v_cndmask_b32_e64 v24, v29, v24, s[6:7]
	v_alignbit_b32 v32, v25, v27, 30
	v_sub_u32_e32 v36, 0, v35
	v_cndmask_b32_e64 v2, v2, v24, s[8:9]
	v_xor_b32_e32 v32, v32, v36
	v_alignbit_b32 v24, v31, v2, v33
	v_cndmask_b32_e64 v24, v24, v31, s[10:11]
	v_ffbh_u32_e32 v29, v32
	v_alignbit_b32 v27, v27, v24, 30
	v_min_u32_e32 v29, 32, v29
	v_alignbit_b32 v2, v24, v2, 30
	v_xor_b32_e32 v27, v27, v36
	v_sub_u32_e32 v30, 31, v29
	v_xor_b32_e32 v2, v2, v36
	v_alignbit_b32 v31, v32, v27, v30
	v_alignbit_b32 v2, v27, v2, v30
	;; [unrolled: 1-line block ×3, first 2 shown]
	v_ffbh_u32_e32 v27, v24
	v_min_u32_e32 v27, 32, v27
	v_lshrrev_b32_e32 v34, 29, v25
	v_not_b32_e32 v30, v27
	v_alignbit_b32 v2, v24, v2, v30
	v_lshlrev_b32_e32 v24, 31, v34
	v_or_b32_e32 v30, 0x33000000, v24
	v_add_lshl_u32 v27, v27, v29, 23
	v_lshrrev_b32_e32 v2, 9, v2
	v_sub_u32_e32 v27, v30, v27
	v_or_b32_e32 v24, 0.5, v24
	v_lshlrev_b32_e32 v29, 23, v29
	v_or_b32_e32 v2, v27, v2
	v_lshrrev_b32_e32 v27, 9, v31
	v_sub_u32_e32 v24, v24, v29
	v_or_b32_e32 v24, v27, v24
	v_mul_f32_e32 v27, 0x3fc90fda, v24
	v_fma_f32 v29, v24, s29, -v27
	v_fmac_f32_e32 v29, 0x33a22168, v24
	v_fmac_f32_e32 v29, 0x3fc90fda, v2
	v_lshrrev_b32_e32 v2, 30, v25
	v_add_f32_e32 v27, v27, v29
	v_add_u32_e32 v25, v35, v2
.LBB5_20:                               ;   in Loop: Header=BB5_2 Depth=1
	s_or_saveexec_b64 s[6:7], s[14:15]
	v_mul_f32_e64 v2, |v22|, s31
	v_rndne_f32_e32 v29, v2
	s_xor_b64 exec, exec, s[6:7]
; %bb.21:                               ;   in Loop: Header=BB5_2 Depth=1
	v_cvt_i32_f32_e32 v25, v29
	v_fma_f32 v27, v29, s33, |v22|
	v_fmac_f32_e32 v27, 0xb3a22168, v29
	v_fmac_f32_e32 v27, 0xa7c234c4, v29
; %bb.22:                               ;   in Loop: Header=BB5_2 Depth=1
	s_or_b64 exec, exec, s[6:7]
                                        ; implicit-def: $vgpr2
                                        ; implicit-def: $vgpr24
	s_and_saveexec_b64 s[6:7], s[12:13]
	s_xor_b64 s[12:13], exec, s[6:7]
	s_cbranch_execz .LBB5_24
; %bb.23:                               ;   in Loop: Header=BB5_2 Depth=1
	v_mad_u64_u32 v[29:30], s[6:7], v26, s22, 0
	v_cmp_lt_u32_e32 vcc, 63, v28
	v_mov_b32_e32 v2, v30
	v_mad_u64_u32 v[30:31], s[6:7], v26, s23, v[2:3]
	v_mov_b32_e32 v2, v31
	v_mad_u64_u32 v[31:32], s[6:7], v26, s24, v[2:3]
	v_mov_b32_e32 v2, v32
	v_mad_u64_u32 v[32:33], s[6:7], v26, s25, v[2:3]
	v_cndmask_b32_e32 v2, 0, v7, vcc
	v_add_u32_e32 v24, v2, v28
	v_mov_b32_e32 v2, v33
	v_mad_u64_u32 v[33:34], s[6:7], v26, s26, v[2:3]
	v_cmp_lt_u32_e64 s[6:7], 31, v24
	v_cndmask_b32_e64 v2, 0, v8, s[6:7]
	v_add_u32_e32 v24, v2, v24
	v_mov_b32_e32 v2, v34
	v_mad_u64_u32 v[34:35], s[8:9], v26, s27, v[2:3]
	v_cmp_lt_u32_e64 s[8:9], 31, v24
	v_cndmask_b32_e64 v2, 0, v8, s[8:9]
	v_add_u32_e32 v24, v2, v24
	v_mov_b32_e32 v2, v35
	v_mad_u64_u32 v[35:36], s[10:11], v26, s28, v[2:3]
	v_cndmask_b32_e32 v2, v33, v31, vcc
	v_cndmask_b32_e32 v26, v34, v32, vcc
	;; [unrolled: 1-line block ×4, first 2 shown]
	v_cndmask_b32_e64 v28, v26, v2, s[6:7]
	v_cndmask_b32_e64 v26, v33, v26, s[6:7]
	;; [unrolled: 1-line block ×3, first 2 shown]
	v_sub_u32_e32 v34, 32, v24
	v_cmp_eq_u32_e64 s[10:11], 0, v24
	v_cndmask_b32_e32 v24, v32, v30, vcc
	v_cndmask_b32_e64 v33, v33, v26, s[8:9]
	v_cndmask_b32_e64 v26, v26, v28, s[8:9]
	;; [unrolled: 1-line block ×3, first 2 shown]
	v_alignbit_b32 v35, v33, v26, v34
	v_cndmask_b32_e64 v28, v28, v2, s[8:9]
	v_cndmask_b32_e64 v33, v35, v33, s[10:11]
	v_alignbit_b32 v30, v26, v28, v34
	v_cndmask_b32_e32 v29, v31, v29, vcc
	v_cndmask_b32_e64 v26, v30, v26, s[10:11]
	v_bfe_u32 v35, v33, 29, 1
	v_cndmask_b32_e64 v24, v24, v29, s[6:7]
	v_alignbit_b32 v30, v33, v26, 30
	v_sub_u32_e32 v36, 0, v35
	v_cndmask_b32_e64 v2, v2, v24, s[8:9]
	v_xor_b32_e32 v30, v30, v36
	v_alignbit_b32 v24, v28, v2, v34
	v_cndmask_b32_e64 v24, v24, v28, s[10:11]
	v_ffbh_u32_e32 v28, v30
	v_alignbit_b32 v26, v26, v24, 30
	v_min_u32_e32 v28, 32, v28
	v_alignbit_b32 v2, v24, v2, 30
	v_xor_b32_e32 v26, v26, v36
	v_sub_u32_e32 v29, 31, v28
	v_xor_b32_e32 v2, v2, v36
	v_alignbit_b32 v30, v30, v26, v29
	v_alignbit_b32 v2, v26, v2, v29
	;; [unrolled: 1-line block ×3, first 2 shown]
	v_ffbh_u32_e32 v26, v24
	v_min_u32_e32 v26, 32, v26
	v_lshrrev_b32_e32 v32, 29, v33
	v_not_b32_e32 v29, v26
	v_alignbit_b32 v2, v24, v2, v29
	v_lshlrev_b32_e32 v24, 31, v32
	v_or_b32_e32 v29, 0x33000000, v24
	v_add_lshl_u32 v26, v26, v28, 23
	v_lshrrev_b32_e32 v2, 9, v2
	v_sub_u32_e32 v26, v29, v26
	v_or_b32_e32 v24, 0.5, v24
	v_lshlrev_b32_e32 v28, 23, v28
	v_or_b32_e32 v2, v26, v2
	v_lshrrev_b32_e32 v26, 9, v30
	v_sub_u32_e32 v24, v24, v28
	v_or_b32_e32 v24, v26, v24
	v_mul_f32_e32 v26, 0x3fc90fda, v24
	v_fma_f32 v28, v24, s29, -v26
	v_fmac_f32_e32 v28, 0x33a22168, v24
	v_fmac_f32_e32 v28, 0x3fc90fda, v2
	v_lshrrev_b32_e32 v2, 30, v33
	v_add_f32_e32 v24, v26, v28
	v_add_u32_e32 v2, v35, v2
                                        ; implicit-def: $vgpr29
	s_andn2_saveexec_b64 s[6:7], s[12:13]
	s_cbranch_execz .LBB5_1
	s_branch .LBB5_25
.LBB5_24:                               ;   in Loop: Header=BB5_2 Depth=1
	s_andn2_saveexec_b64 s[6:7], s[12:13]
	s_cbranch_execz .LBB5_1
.LBB5_25:                               ;   in Loop: Header=BB5_2 Depth=1
	v_cvt_i32_f32_e32 v2, v29
	v_fma_f32 v24, v29, s33, |v22|
	v_fmac_f32_e32 v24, 0xb3a22168, v29
	v_fmac_f32_e32 v24, 0xa7c234c4, v29
	s_branch .LBB5_1
.LBB5_26:
	s_load_dwordx2 s[6:7], s[4:5], 0x0
	s_load_dwordx4 s[20:23], s[4:5], 0x48
	buffer_load_dword v0, off, s[0:3], 0 offset:128
	s_mov_b32 s25, 0
	s_movk_i32 s34, 0x46
	s_waitcnt lgkmcnt(0)
	s_max_i32 s31, s7, 1
	s_max_i32 s33, s6, 1
	s_add_u32 s18, s36, 8
	s_addc_u32 s19, s37, 0
	s_movk_i32 s35, 0x45
	s_mov_b32 s36, 0xf800000
	s_mov_b32 s24, s25
	v_mov_b32_e32 v39, 0
	v_mov_b32_e32 v35, 0x260
	;; [unrolled: 1-line block ×3, first 2 shown]
	s_waitcnt vmcnt(0)
	buffer_store_dword v0, off, s[0:3], 0 offset:2012 ; 4-byte Folded Spill
	buffer_load_dword v0, off, s[0:3], 0 offset:132
	s_waitcnt vmcnt(0)
	buffer_store_dword v0, off, s[0:3], 0 offset:2016 ; 4-byte Folded Spill
	buffer_load_dword v0, off, s[0:3], 0 offset:136
	;; [unrolled: 3-line block ×299, first 2 shown]
	s_waitcnt vmcnt(0)
	buffer_store_dword v0, off, s[0:3], 0 offset:3208 ; 4-byte Folded Spill
.LBB5_27:                               ; =>This Loop Header: Depth=1
                                        ;     Child Loop BB5_28 Depth 2
	s_lshl_b64 s[4:5], s[24:25], 4
	s_add_u32 s4, s38, s4
	s_addc_u32 s5, s39, s5
	buffer_load_dword v8, off, s[0:3], 0 offset:1328
	buffer_load_dword v6, off, s[0:3], 0 offset:1332
	;; [unrolled: 1-line block ×8, first 2 shown]
	global_load_dwordx4 v[0:3], v39, s[4:5]
	s_mov_b32 s37, s31
	s_mov_b64 s[26:27], s[18:19]
	s_waitcnt vmcnt(0)
	v_fmac_f32_e32 v30, v0, v8
	v_fmac_f32_e32 v31, v0, v9
	buffer_load_dword v12, off, s[0:3], 0 offset:1360
	buffer_load_dword v32, off, s[0:3], 0 offset:1372
	;; [unrolled: 1-line block ×8, first 2 shown]
	v_fmac_f32_e32 v30, v1, v6
	v_fmac_f32_e32 v31, v1, v7
	;; [unrolled: 1-line block ×4, first 2 shown]
	s_waitcnt vmcnt(6)
	v_fmac_f32_e32 v32, v0, v12
	s_waitcnt vmcnt(4)
	v_fmac_f32_e32 v33, v0, v13
	buffer_load_dword v34, off, s[0:3], 0 offset:1404
	buffer_load_dword v14, off, s[0:3], 0 offset:1392
	;; [unrolled: 1-line block ×8, first 2 shown]
	s_waitcnt vmcnt(9)
	v_fmac_f32_e32 v32, v1, v11
	v_fmac_f32_e32 v33, v1, v10
	s_waitcnt vmcnt(8)
	v_fmac_f32_e32 v32, v2, v9
	v_fmac_f32_e32 v33, v2, v8
	s_waitcnt vmcnt(6)
	v_fmac_f32_e32 v34, v0, v14
	s_waitcnt vmcnt(2)
	v_fmac_f32_e32 v34, v1, v17
	s_waitcnt vmcnt(1)
	v_fmac_f32_e32 v34, v2, v13
	s_waitcnt vmcnt(0)
	v_fmac_f32_e32 v37, v0, v15
	buffer_load_dword v38, off, s[0:3], 0 offset:1436
	buffer_load_dword v14, off, s[0:3], 0 offset:1424
	;; [unrolled: 1-line block ×8, first 2 shown]
	v_fmac_f32_e32 v37, v1, v16
	v_fmac_f32_e32 v37, v2, v12
	s_waitcnt vmcnt(6)
	v_fmac_f32_e32 v38, v0, v14
	s_waitcnt vmcnt(2)
	;; [unrolled: 2-line block ×4, first 2 shown]
	v_fmac_f32_e32 v40, v0, v15
	buffer_load_dword v41, off, s[0:3], 0 offset:1468
	buffer_load_dword v14, off, s[0:3], 0 offset:1456
	;; [unrolled: 1-line block ×8, first 2 shown]
	v_fmac_f32_e32 v40, v1, v18
	v_fmac_f32_e32 v40, v2, v19
	s_waitcnt vmcnt(6)
	v_fmac_f32_e32 v41, v0, v14
	s_waitcnt vmcnt(2)
	;; [unrolled: 2-line block ×4, first 2 shown]
	v_fmac_f32_e32 v42, v0, v15
	v_fmac_f32_e32 v42, v1, v22
	;; [unrolled: 1-line block ×3, first 2 shown]
	buffer_load_dword v47, off, s[0:3], 0 offset:1500
	buffer_load_dword v14, off, s[0:3], 0 offset:1488
	;; [unrolled: 1-line block ×8, first 2 shown]
	s_waitcnt vmcnt(6)
	v_fmac_f32_e32 v47, v0, v14
	buffer_store_dword v30, off, s[0:3], 0 offset:1664 ; 4-byte Folded Spill
	buffer_store_dword v31, off, s[0:3], 0 offset:1668 ; 4-byte Folded Spill
	;; [unrolled: 1-line block ×10, first 2 shown]
	buffer_load_dword v49, off, s[0:3], 0 offset:1532
	buffer_load_dword v4, off, s[0:3], 0 offset:1520
	;; [unrolled: 1-line block ×8, first 2 shown]
	s_waitcnt vmcnt(18)
	v_fmac_f32_e32 v48, v0, v15
	v_fmac_f32_e32 v47, v1, v26
	;; [unrolled: 1-line block ×5, first 2 shown]
	s_waitcnt vmcnt(6)
	v_fmac_f32_e32 v49, v0, v4
	s_waitcnt vmcnt(5)
	v_fmac_f32_e32 v49, v1, v5
	s_waitcnt vmcnt(1)
	v_fmac_f32_e32 v50, v0, v6
	v_fmac_f32_e32 v50, v1, v7
	s_waitcnt vmcnt(0)
	v_fmac_f32_e32 v49, v2, v9
	v_fmac_f32_e32 v50, v2, v8
	buffer_load_dword v51, off, s[0:3], 0 offset:1564
	buffer_load_dword v4, off, s[0:3], 0 offset:1552
	buffer_load_dword v5, off, s[0:3], 0 offset:1556
	buffer_load_dword v6, off, s[0:3], 0 offset:1568
	buffer_load_dword v7, off, s[0:3], 0 offset:1572
	buffer_load_dword v8, off, s[0:3], 0 offset:1576
	buffer_load_dword v52, off, s[0:3], 0 offset:1580
	buffer_load_dword v9, off, s[0:3], 0 offset:1560
	s_waitcnt vmcnt(6)
	v_fmac_f32_e32 v51, v0, v4
	s_waitcnt vmcnt(5)
	v_fmac_f32_e32 v51, v1, v5
	s_waitcnt vmcnt(1)
	v_fmac_f32_e32 v52, v0, v6
	v_fmac_f32_e32 v52, v1, v7
	s_waitcnt vmcnt(0)
	v_fmac_f32_e32 v51, v2, v9
	v_fmac_f32_e32 v52, v2, v8
	buffer_load_dword v53, off, s[0:3], 0 offset:1596
	buffer_load_dword v4, off, s[0:3], 0 offset:1584
	buffer_load_dword v5, off, s[0:3], 0 offset:1588
	buffer_load_dword v6, off, s[0:3], 0 offset:1600
	buffer_load_dword v7, off, s[0:3], 0 offset:1604
	buffer_load_dword v8, off, s[0:3], 0 offset:1608
	buffer_load_dword v55, off, s[0:3], 0 offset:1612
	buffer_load_dword v9, off, s[0:3], 0 offset:1592
	;; [unrolled: 18-line block ×3, first 2 shown]
	s_waitcnt vmcnt(6)
	v_fmac_f32_e32 v57, v0, v4
	s_waitcnt vmcnt(5)
	v_fmac_f32_e32 v57, v1, v5
	;; [unrolled: 2-line block ×3, first 2 shown]
	buffer_load_dword v61, off, s[0:3], 0 offset:1660
	buffer_load_dword v4, off, s[0:3], 0 offset:1648
	;; [unrolled: 1-line block ×4, first 2 shown]
	v_fmac_f32_e32 v59, v1, v7
	s_waitcnt vmcnt(4)
	v_fmac_f32_e32 v57, v2, v9
	v_fmac_f32_e32 v59, v2, v8
	s_waitcnt vmcnt(2)
	v_fmac_f32_e32 v61, v0, v4
	s_waitcnt vmcnt(1)
	;; [unrolled: 2-line block ×3, first 2 shown]
	v_fmac_f32_e32 v61, v2, v6
	buffer_load_dword v5, off, s[0:3], 0 offset:2012 ; 4-byte Folded Reload
	buffer_load_dword v6, off, s[0:3], 0 offset:2024 ; 4-byte Folded Reload
	v_ashrrev_i32_e32 v4, 31, v3
	s_waitcnt vmcnt(0)
	v_fma_f32 v6, v0, v5, v6
	buffer_load_dword v5, off, s[0:3], 0 offset:2016 ; 4-byte Folded Reload
	s_waitcnt vmcnt(0)
	v_fmac_f32_e32 v6, v1, v5
	buffer_load_dword v5, off, s[0:3], 0 offset:2020 ; 4-byte Folded Reload
	s_waitcnt vmcnt(0)
	v_fmac_f32_e32 v6, v2, v5
	buffer_store_dword v6, off, s[0:3], 0 offset:1704 ; 4-byte Folded Spill
	buffer_load_dword v5, off, s[0:3], 0 offset:2028 ; 4-byte Folded Reload
	s_nop 0
	buffer_load_dword v6, off, s[0:3], 0 offset:2040 ; 4-byte Folded Reload
	s_waitcnt vmcnt(0)
	v_fma_f32 v6, v0, v5, v6
	buffer_load_dword v5, off, s[0:3], 0 offset:2032 ; 4-byte Folded Reload
	s_waitcnt vmcnt(0)
	v_fmac_f32_e32 v6, v1, v5
	buffer_load_dword v5, off, s[0:3], 0 offset:2036 ; 4-byte Folded Reload
	s_waitcnt vmcnt(0)
	v_fmac_f32_e32 v6, v2, v5
	buffer_store_dword v6, off, s[0:3], 0 offset:1708 ; 4-byte Folded Spill
	buffer_load_dword v5, off, s[0:3], 0 offset:2044 ; 4-byte Folded Reload
	s_nop 0
	buffer_load_dword v6, off, s[0:3], 0 offset:2056 ; 4-byte Folded Reload
	;; [unrolled: 12-line block ×74, first 2 shown]
	s_waitcnt vmcnt(0)
	v_fma_f32 v5, v0, v6, v5
	buffer_load_dword v0, off, s[0:3], 0 offset:3204 ; 4-byte Folded Reload
	s_waitcnt vmcnt(0)
	v_fmac_f32_e32 v5, v1, v0
	buffer_load_dword v0, off, s[0:3], 0 offset:3208 ; 4-byte Folded Reload
	s_waitcnt vmcnt(0)
	v_fmac_f32_e32 v5, v2, v0
	v_lshlrev_b64 v[0:1], 4, v[3:4]
	v_mov_b32_e32 v2, s23
	v_add_co_u32_e32 v0, vcc, s22, v0
	v_addc_co_u32_e32 v1, vcc, v2, v1, vcc
	global_load_dwordx4 v[0:3], v[0:1], off
	s_waitcnt vmcnt(0)
	v_cmp_eq_u32_e64 s[8:9], s34, v0
	v_cmp_eq_u32_e64 s[10:11], s35, v0
	v_mov_b32_e32 v0, 0x40b00000
	v_cmp_gt_f32_e64 s[12:13], 0, v2
	v_cndmask_b32_e64 v0, 1.0, v0, s[12:13]
	buffer_store_dword v0, off, s[0:3], 0 offset:2004 ; 4-byte Folded Spill
	v_mov_b32_e32 v0, 0xff7fffff
	v_cndmask_b32_e64 v0, v0, 1.0, s[12:13]
	buffer_store_dword v5, off, s[0:3], 0 offset:2000 ; 4-byte Folded Spill
	buffer_store_dword v0, off, s[0:3], 0 offset:2008 ; 4-byte Folded Spill
	buffer_load_dword v23, off, s[0:3], 0
	buffer_load_dword v21, off, s[0:3], 0 offset:4
	buffer_load_dword v20, off, s[0:3], 0 offset:8
	;; [unrolled: 1-line block ×31, first 2 shown]
	v_cmp_lt_f32_e64 s[6:7], 0, v2
.LBB5_28:                               ;   Parent Loop BB5_27 Depth=1
                                        ; =>  This Inner Loop Header: Depth=2
	global_load_dwordx4 v[4:7], v39, s[26:27] offset:-8
	s_waitcnt vmcnt(0)
	v_ashrrev_i32_e32 v40, 31, v7
	v_mov_b32_e32 v39, v7
	v_lshlrev_b64 v[39:40], 4, v[39:40]
	v_mov_b32_e32 v7, s23
	v_add_co_u32_e32 v39, vcc, s22, v39
	v_addc_co_u32_e32 v40, vcc, v7, v40, vcc
	global_load_dwordx4 v[42:45], v[39:40], off
	s_waitcnt vmcnt(0)
	v_add_f32_e32 v17, v1, v43
	v_div_scale_f32 v7, s[4:5], v17, v17, 1.0
	v_cmp_lt_f32_e64 s[4:5], 0, v44
	s_and_b64 s[4:5], s[4:5], s[12:13]
	v_cmp_neq_f32_e64 s[14:15], 0, v44
	v_rcp_f32_e32 v11, v7
	v_fma_f32 v13, -v7, v11, 1.0
	v_fmac_f32_e32 v11, v13, v11
	v_div_scale_f32 v13, vcc, 1.0, v17, 1.0
	v_mul_f32_e32 v15, v13, v11
	v_fma_f32 v39, -v7, v15, v13
	v_fmac_f32_e32 v15, v39, v11
	v_fma_f32 v7, -v7, v15, v13
	v_div_fmas_f32 v7, v7, v11, v15
	v_cmp_eq_u32_e32 vcc, s34, v42
	s_and_b64 vcc, vcc, s[8:9]
	v_cndmask_b32_e64 v11, 2.0, 4.0, vcc
	v_div_fixup_f32 v41, v7, v17, 1.0
	v_mov_b32_e32 v7, 0x3e800000
	v_cndmask_b32_e32 v40, 0.5, v7, vcc
	buffer_load_dword v7, off, s[0:3], 0 offset:2004 ; 4-byte Folded Reload
	buffer_load_dword v13, off, s[0:3], 0 offset:2008 ; 4-byte Folded Reload
	v_cmp_eq_u32_e32 vcc, s35, v42
	s_or_b64 s[28:29], vcc, s[10:11]
	v_cmp_gt_f32_e32 vcc, 0, v44
	v_cndmask_b32_e64 v42, v2, -v2, s[4:5]
	s_and_b64 s[40:41], vcc, s[6:7]
	v_cndmask_b32_e64 v39, v44, -v44, s[40:41]
	v_add_f32_e32 v39, v39, v42
	buffer_load_dword v42, off, s[0:3], 0 offset:1704 ; 4-byte Folded Reload
	s_waitcnt vmcnt(1)
	v_cndmask_b32_e32 v7, v13, v7, vcc
	v_div_scale_f32 v13, s[4:5], v7, v7, 1.0
	v_rcp_f32_e32 v15, v13
	v_fma_f32 v43, -v13, v15, 1.0
	v_fmac_f32_e32 v15, v43, v15
	v_div_scale_f32 v43, vcc, 1.0, v7, 1.0
	v_mul_f32_e32 v44, v43, v15
	v_fma_f32 v46, -v13, v44, v43
	v_fmac_f32_e32 v44, v46, v15
	v_fma_f32 v13, -v13, v44, v43
	buffer_load_dword v43, off, s[0:3], 0 offset:1708 ; 4-byte Folded Reload
	v_div_fmas_f32 v13, v13, v15, v44
	buffer_load_dword v44, off, s[0:3], 0 offset:1712 ; 4-byte Folded Reload
	s_waitcnt vmcnt(2)
	v_sub_f32_e32 v42, v42, v4
	v_mul_f32_e32 v15, v3, v45
	v_div_fixup_f32 v13, v13, v7, 1.0
	s_waitcnt vmcnt(1)
	v_sub_f32_e32 v43, v43, v5
	v_mul_f32_e32 v43, v43, v43
	s_waitcnt vmcnt(0)
	v_sub_f32_e32 v44, v44, v6
	v_fmac_f32_e32 v43, v42, v42
	v_fmac_f32_e32 v43, v44, v44
	v_cmp_gt_f32_e32 vcc, s36, v43
	v_mul_f32_e32 v42, 0x4f800000, v43
	v_cndmask_b32_e32 v42, v43, v42, vcc
	v_sqrt_f32_e32 v43, v42
	v_add_u32_e32 v44, -1, v43
	v_fma_f32 v45, -v44, v43, v42
	v_cmp_ge_f32_e64 s[4:5], 0, v45
	v_add_u32_e32 v45, 1, v43
	v_cndmask_b32_e64 v44, v43, v44, s[4:5]
	v_fma_f32 v43, -v45, v43, v42
	v_cmp_lt_f32_e64 s[4:5], 0, v43
	v_cndmask_b32_e64 v43, v44, v45, s[4:5]
	v_mul_f32_e32 v44, 0x37800000, v43
	v_cndmask_b32_e32 v43, v43, v44, vcc
	v_cmp_class_f32_e32 vcc, v42, v35
	v_cndmask_b32_e32 v42, v43, v42, vcc
	v_sub_f32_e32 v43, v42, v17
	v_cmp_gt_f32_e32 vcc, 0, v43
	v_fma_f32 v42, -v41, v42, 1.0
	v_cndmask_b32_e32 v44, 0, v36, vcc
	v_fmac_f32_e32 v23, v42, v44
	v_fma_f32 v42, -v40, v43, 1.0
	v_cmp_lt_f32_e64 s[4:5], v43, v11
	v_cndmask_b32_e64 v42, v42, 1.0, vcc
	v_cndmask_b32_e64 v44, 0, 1.0, s[4:5]
	v_mul_f32_e32 v42, v44, v42
	v_mul_f32_e32 v42, v15, v42
	v_cmp_lt_f32_e64 s[4:5], v43, v7
	v_cndmask_b32_e64 v42, v42, -|v42|, s[28:29]
	s_and_b64 s[4:5], s[14:15], s[4:5]
	v_fmac_f32_e32 v23, 0x42340000, v42
	v_fma_f32 v42, -v13, v43, 1.0
	v_cndmask_b32_e64 v43, 0, 1.0, s[4:5]
	v_mul_f32_e32 v43, v39, v43
	v_cndmask_b32_e64 v42, v42, 1.0, vcc
	v_fmac_f32_e32 v23, v42, v43
	buffer_load_dword v42, off, s[0:3], 0 offset:1716 ; 4-byte Folded Reload
	buffer_load_dword v43, off, s[0:3], 0 offset:1720 ; 4-byte Folded Reload
	buffer_load_dword v44, off, s[0:3], 0 offset:1724 ; 4-byte Folded Reload
	s_waitcnt vmcnt(2)
	v_sub_f32_e32 v42, v42, v4
	s_waitcnt vmcnt(1)
	v_sub_f32_e32 v43, v43, v5
	v_mul_f32_e32 v43, v43, v43
	s_waitcnt vmcnt(0)
	v_sub_f32_e32 v44, v44, v6
	v_fmac_f32_e32 v43, v42, v42
	v_fmac_f32_e32 v43, v44, v44
	v_cmp_gt_f32_e32 vcc, s36, v43
	v_mul_f32_e32 v42, 0x4f800000, v43
	v_cndmask_b32_e32 v42, v43, v42, vcc
	v_sqrt_f32_e32 v43, v42
	v_add_u32_e32 v44, -1, v43
	v_fma_f32 v45, -v44, v43, v42
	v_cmp_ge_f32_e64 s[4:5], 0, v45
	v_add_u32_e32 v45, 1, v43
	v_cndmask_b32_e64 v44, v43, v44, s[4:5]
	v_fma_f32 v43, -v45, v43, v42
	v_cmp_lt_f32_e64 s[4:5], 0, v43
	v_cndmask_b32_e64 v43, v44, v45, s[4:5]
	v_mul_f32_e32 v44, 0x37800000, v43
	v_cndmask_b32_e32 v43, v43, v44, vcc
	v_cmp_class_f32_e32 vcc, v42, v35
	v_cndmask_b32_e32 v42, v43, v42, vcc
	v_sub_f32_e32 v43, v42, v17
	v_cmp_gt_f32_e32 vcc, 0, v43
	v_fma_f32 v42, -v41, v42, 1.0
	v_cndmask_b32_e32 v44, 0, v36, vcc
	v_fmac_f32_e32 v21, v42, v44
	v_fma_f32 v42, -v40, v43, 1.0
	v_cmp_lt_f32_e64 s[4:5], v43, v11
	v_cndmask_b32_e64 v42, v42, 1.0, vcc
	v_cndmask_b32_e64 v44, 0, 1.0, s[4:5]
	v_mul_f32_e32 v42, v44, v42
	v_mul_f32_e32 v42, v15, v42
	v_cmp_lt_f32_e64 s[4:5], v43, v7
	v_cndmask_b32_e64 v42, v42, -|v42|, s[28:29]
	s_and_b64 s[4:5], s[14:15], s[4:5]
	v_fmac_f32_e32 v21, 0x42340000, v42
	v_fma_f32 v42, -v13, v43, 1.0
	v_cndmask_b32_e64 v43, 0, 1.0, s[4:5]
	v_mul_f32_e32 v43, v39, v43
	v_cndmask_b32_e64 v42, v42, 1.0, vcc
	v_fmac_f32_e32 v21, v42, v43
	buffer_load_dword v42, off, s[0:3], 0 offset:1728 ; 4-byte Folded Reload
	buffer_load_dword v43, off, s[0:3], 0 offset:1732 ; 4-byte Folded Reload
	buffer_load_dword v44, off, s[0:3], 0 offset:1736 ; 4-byte Folded Reload
	s_waitcnt vmcnt(2)
	v_sub_f32_e32 v42, v42, v4
	;; [unrolled: 48-line block ×27, first 2 shown]
	s_waitcnt vmcnt(1)
	v_sub_f32_e32 v43, v43, v5
	v_mul_f32_e32 v43, v43, v43
	s_waitcnt vmcnt(0)
	v_sub_f32_e32 v44, v44, v6
	v_fmac_f32_e32 v43, v42, v42
	v_fmac_f32_e32 v43, v44, v44
	v_cmp_gt_f32_e32 vcc, s36, v43
	v_mul_f32_e32 v42, 0x4f800000, v43
	v_cndmask_b32_e32 v42, v43, v42, vcc
	v_sqrt_f32_e32 v43, v42
	v_add_u32_e32 v44, -1, v43
	v_fma_f32 v45, -v44, v43, v42
	v_cmp_ge_f32_e64 s[4:5], 0, v45
	v_add_u32_e32 v45, 1, v43
	v_cndmask_b32_e64 v44, v43, v44, s[4:5]
	v_fma_f32 v43, -v45, v43, v42
	v_cmp_lt_f32_e64 s[4:5], 0, v43
	v_cndmask_b32_e64 v43, v44, v45, s[4:5]
	v_mul_f32_e32 v44, 0x37800000, v43
	v_cndmask_b32_e32 v43, v43, v44, vcc
	v_cmp_class_f32_e32 vcc, v42, v35
	v_cndmask_b32_e32 v42, v43, v42, vcc
	v_sub_f32_e32 v43, v42, v17
	v_cmp_gt_f32_e32 vcc, 0, v43
	v_fma_f32 v42, -v41, v42, 1.0
	v_cndmask_b32_e32 v44, 0, v36, vcc
	v_fmac_f32_e32 v28, v42, v44
	v_fma_f32 v42, -v40, v43, 1.0
	v_cmp_lt_f32_e64 s[4:5], v43, v11
	v_cndmask_b32_e64 v42, v42, 1.0, vcc
	v_cndmask_b32_e64 v44, 0, 1.0, s[4:5]
	v_mul_f32_e32 v42, v44, v42
	v_mul_f32_e32 v42, v15, v42
	v_cmp_lt_f32_e64 s[4:5], v43, v7
	v_cndmask_b32_e64 v42, v42, -|v42|, s[28:29]
	s_and_b64 s[4:5], s[14:15], s[4:5]
	v_fmac_f32_e32 v28, 0x42340000, v42
	v_fma_f32 v42, -v13, v43, 1.0
	v_cndmask_b32_e64 v43, 0, 1.0, s[4:5]
	v_mul_f32_e32 v43, v39, v43
	v_cndmask_b32_e64 v42, v42, 1.0, vcc
	v_fmac_f32_e32 v28, v42, v43
	buffer_load_dword v42, off, s[0:3], 0 offset:1700 ; 4-byte Folded Reload
	v_sub_f32_e32 v43, v47, v5
	v_mul_f32_e32 v43, v43, v43
	v_sub_f32_e32 v44, v48, v6
	s_waitcnt vmcnt(0)
	v_sub_f32_e32 v42, v42, v4
	v_fmac_f32_e32 v43, v42, v42
	v_fmac_f32_e32 v43, v44, v44
	v_cmp_gt_f32_e32 vcc, s36, v43
	v_mul_f32_e32 v42, 0x4f800000, v43
	v_cndmask_b32_e32 v42, v43, v42, vcc
	v_sqrt_f32_e32 v43, v42
	v_add_u32_e32 v44, -1, v43
	v_fma_f32 v45, -v44, v43, v42
	v_cmp_ge_f32_e64 s[4:5], 0, v45
	v_add_u32_e32 v45, 1, v43
	v_cndmask_b32_e64 v44, v43, v44, s[4:5]
	v_fma_f32 v43, -v45, v43, v42
	v_cmp_lt_f32_e64 s[4:5], 0, v43
	v_cndmask_b32_e64 v43, v44, v45, s[4:5]
	v_mul_f32_e32 v44, 0x37800000, v43
	v_cndmask_b32_e32 v43, v43, v44, vcc
	v_cmp_class_f32_e32 vcc, v42, v35
	v_cndmask_b32_e32 v42, v43, v42, vcc
	v_sub_f32_e32 v43, v42, v17
	v_cmp_gt_f32_e32 vcc, 0, v43
	v_fma_f32 v42, -v41, v42, 1.0
	v_cndmask_b32_e32 v44, 0, v36, vcc
	v_fmac_f32_e32 v27, v42, v44
	v_fma_f32 v42, -v40, v43, 1.0
	v_cmp_lt_f32_e64 s[4:5], v43, v11
	v_cndmask_b32_e64 v42, v42, 1.0, vcc
	v_cndmask_b32_e64 v44, 0, 1.0, s[4:5]
	v_mul_f32_e32 v42, v44, v42
	v_mul_f32_e32 v42, v15, v42
	v_cmp_lt_f32_e64 s[4:5], v43, v7
	v_cndmask_b32_e64 v42, v42, -|v42|, s[28:29]
	s_and_b64 s[4:5], s[14:15], s[4:5]
	v_fmac_f32_e32 v27, 0x42340000, v42
	v_fma_f32 v42, -v13, v43, 1.0
	v_cndmask_b32_e64 v43, 0, 1.0, s[4:5]
	v_mul_f32_e32 v43, v39, v43
	v_cndmask_b32_e64 v42, v42, 1.0, vcc
	v_fmac_f32_e32 v27, v42, v43
	v_sub_f32_e32 v43, v50, v5
	v_sub_f32_e32 v42, v49, v4
	v_mul_f32_e32 v43, v43, v43
	v_sub_f32_e32 v44, v51, v6
	v_fmac_f32_e32 v43, v42, v42
	v_fmac_f32_e32 v43, v44, v44
	v_cmp_gt_f32_e32 vcc, s36, v43
	v_mul_f32_e32 v42, 0x4f800000, v43
	v_cndmask_b32_e32 v42, v43, v42, vcc
	v_sqrt_f32_e32 v43, v42
	v_add_u32_e32 v44, -1, v43
	v_fma_f32 v45, -v44, v43, v42
	v_cmp_ge_f32_e64 s[4:5], 0, v45
	v_add_u32_e32 v45, 1, v43
	v_cndmask_b32_e64 v44, v43, v44, s[4:5]
	v_fma_f32 v43, -v45, v43, v42
	v_cmp_lt_f32_e64 s[4:5], 0, v43
	v_cndmask_b32_e64 v43, v44, v45, s[4:5]
	v_mul_f32_e32 v44, 0x37800000, v43
	v_cndmask_b32_e32 v43, v43, v44, vcc
	v_cmp_class_f32_e32 vcc, v42, v35
	v_cndmask_b32_e32 v42, v43, v42, vcc
	v_sub_f32_e32 v43, v42, v17
	v_cmp_gt_f32_e32 vcc, 0, v43
	v_fma_f32 v42, -v41, v42, 1.0
	v_cndmask_b32_e32 v44, 0, v36, vcc
	v_fmac_f32_e32 v38, v42, v44
	v_fma_f32 v42, -v40, v43, 1.0
	v_cmp_lt_f32_e64 s[4:5], v43, v11
	v_cndmask_b32_e64 v42, v42, 1.0, vcc
	v_cndmask_b32_e64 v44, 0, 1.0, s[4:5]
	v_mul_f32_e32 v42, v44, v42
	v_mul_f32_e32 v42, v15, v42
	v_cmp_lt_f32_e64 s[4:5], v43, v7
	v_cndmask_b32_e64 v42, v42, -|v42|, s[28:29]
	s_and_b64 s[4:5], s[14:15], s[4:5]
	v_fmac_f32_e32 v38, 0x42340000, v42
	v_fma_f32 v42, -v13, v43, 1.0
	v_cndmask_b32_e64 v43, 0, 1.0, s[4:5]
	v_mul_f32_e32 v43, v39, v43
	v_cndmask_b32_e64 v42, v42, 1.0, vcc
	v_fmac_f32_e32 v38, v42, v43
	v_sub_f32_e32 v43, v53, v5
	v_sub_f32_e32 v42, v52, v4
	v_mul_f32_e32 v43, v43, v43
	v_sub_f32_e32 v44, v55, v6
	v_fmac_f32_e32 v43, v42, v42
	v_fmac_f32_e32 v43, v44, v44
	v_cmp_gt_f32_e32 vcc, s36, v43
	v_mul_f32_e32 v42, 0x4f800000, v43
	v_cndmask_b32_e32 v42, v43, v42, vcc
	v_sqrt_f32_e32 v43, v42
	v_sub_f32_e32 v4, v57, v4
	v_add_u32_e32 v44, -1, v43
	v_fma_f32 v45, -v44, v43, v42
	v_cmp_ge_f32_e64 s[4:5], 0, v45
	v_add_u32_e32 v45, 1, v43
	v_cndmask_b32_e64 v44, v43, v44, s[4:5]
	v_fma_f32 v43, -v45, v43, v42
	v_cmp_lt_f32_e64 s[4:5], 0, v43
	v_cndmask_b32_e64 v43, v44, v45, s[4:5]
	v_mul_f32_e32 v44, 0x37800000, v43
	v_cndmask_b32_e32 v43, v43, v44, vcc
	v_cmp_class_f32_e32 vcc, v42, v35
	v_cndmask_b32_e32 v42, v43, v42, vcc
	v_sub_f32_e32 v43, v42, v17
	v_cmp_gt_f32_e32 vcc, 0, v43
	v_fma_f32 v42, -v41, v42, 1.0
	v_cndmask_b32_e32 v44, 0, v36, vcc
	v_fmac_f32_e32 v25, v42, v44
	v_fma_f32 v42, -v40, v43, 1.0
	v_cmp_lt_f32_e64 s[4:5], v43, v11
	v_cndmask_b32_e64 v42, v42, 1.0, vcc
	v_cndmask_b32_e64 v44, 0, 1.0, s[4:5]
	v_mul_f32_e32 v42, v44, v42
	v_mul_f32_e32 v42, v15, v42
	v_cmp_lt_f32_e64 s[4:5], v43, v7
	v_cndmask_b32_e64 v42, v42, -|v42|, s[28:29]
	s_and_b64 s[4:5], s[14:15], s[4:5]
	v_fmac_f32_e32 v25, 0x42340000, v42
	v_fma_f32 v42, -v13, v43, 1.0
	v_cndmask_b32_e64 v43, 0, 1.0, s[4:5]
	v_mul_f32_e32 v43, v39, v43
	v_cndmask_b32_e64 v42, v42, 1.0, vcc
	v_fmac_f32_e32 v25, v42, v43
	v_sub_f32_e32 v42, v59, v5
	v_sub_f32_e32 v5, v61, v6
	v_mul_f32_e32 v6, v42, v42
	v_fmac_f32_e32 v6, v4, v4
	v_fmac_f32_e32 v6, v5, v5
	v_cmp_gt_f32_e32 vcc, s36, v6
	v_mul_f32_e32 v4, 0x4f800000, v6
	v_cndmask_b32_e32 v4, v6, v4, vcc
	v_sqrt_f32_e32 v5, v4
	v_add_u32_e32 v6, -1, v5
	v_fma_f32 v42, -v6, v5, v4
	v_cmp_ge_f32_e64 s[4:5], 0, v42
	v_add_u32_e32 v42, 1, v5
	v_cndmask_b32_e64 v6, v5, v6, s[4:5]
	v_fma_f32 v5, -v42, v5, v4
	v_cmp_lt_f32_e64 s[4:5], 0, v5
	v_cndmask_b32_e64 v5, v6, v42, s[4:5]
	v_mul_f32_e32 v6, 0x37800000, v5
	v_cndmask_b32_e32 v5, v5, v6, vcc
	v_cmp_class_f32_e32 vcc, v4, v35
	v_cndmask_b32_e32 v5, v5, v4, vcc
	v_sub_f32_e32 v4, v5, v17
	v_cmp_gt_f32_e32 vcc, 0, v4
	v_fma_f32 v5, -v41, v5, 1.0
	v_cndmask_b32_e32 v6, 0, v36, vcc
	v_fmac_f32_e32 v37, v5, v6
	v_fma_f32 v5, -v40, v4, 1.0
	v_cmp_lt_f32_e64 s[4:5], v4, v11
	v_cndmask_b32_e64 v5, v5, 1.0, vcc
	v_cndmask_b32_e64 v6, 0, 1.0, s[4:5]
	v_mul_f32_e32 v5, v6, v5
	v_mul_f32_e32 v5, v15, v5
	v_cmp_lt_f32_e64 s[4:5], v4, v7
	v_cndmask_b32_e64 v5, v5, -|v5|, s[28:29]
	s_and_b64 s[4:5], s[14:15], s[4:5]
	v_fmac_f32_e32 v37, 0x42340000, v5
	v_fma_f32 v5, -v13, v4, 1.0
	v_cndmask_b32_e64 v4, 0, 1.0, s[4:5]
	s_add_u32 s26, s26, 16
	v_mul_f32_e32 v4, v39, v4
	v_cndmask_b32_e64 v5, v5, 1.0, vcc
	s_addc_u32 s27, s27, 0
	s_add_i32 s37, s37, -1
	v_mov_b32_e32 v39, 0
	v_fmac_f32_e32 v37, v5, v4
	s_cmp_lg_u32 s37, 0
	s_cbranch_scc1 .LBB5_28
; %bb.29:                               ;   in Loop: Header=BB5_27 Depth=1
	s_add_i32 s24, s24, 1
	s_cmp_lg_u32 s24, s33
	buffer_store_dword v23, off, s[0:3], 0
	buffer_store_dword v21, off, s[0:3], 0 offset:4
	buffer_store_dword v20, off, s[0:3], 0 offset:8
	;; [unrolled: 1-line block ×31, first 2 shown]
	s_cbranch_scc1 .LBB5_27
; %bb.30:
	s_and_saveexec_b64 s[4:5], s[16:17]
	s_cbranch_execz .LBB5_32
; %bb.31:
	buffer_load_dword v27, off, s[0:3], 0 offset:3212 ; 4-byte Folded Reload
	buffer_load_dword v28, off, s[0:3], 0 offset:3216 ; 4-byte Folded Reload
	s_waitcnt vmcnt(0)
	v_mov_b32_e32 v28, 0
	v_mov_b32_e32 v4, s21
	v_mul_f32_e32 v3, 0.5, v23
	v_mov_b32_e32 v5, s21
	v_mov_b32_e32 v6, s21
	;; [unrolled: 1-line block ×4, first 2 shown]
	v_mul_f32_e32 v9, 0.5, v60
	v_mul_f32_e32 v0, 0.5, v0
	buffer_load_dword v11, off, s[0:3], 0 offset:108
	v_lshlrev_b64 v[1:2], 2, v[27:28]
	v_add_u32_e32 v27, s30, v27
	v_add_co_u32_e32 v1, vcc, s20, v1
	v_addc_co_u32_e32 v2, vcc, v4, v2, vcc
	global_store_dword v[1:2], v3, off
	v_lshlrev_b64 v[1:2], 2, v[27:28]
	v_mul_f32_e32 v3, 0.5, v21
	v_add_co_u32_e32 v1, vcc, s20, v1
	v_addc_co_u32_e32 v2, vcc, v4, v2, vcc
	v_add_u32_e32 v27, s30, v27
	global_store_dword v[1:2], v3, off
	v_lshlrev_b64 v[1:2], 2, v[27:28]
	v_mul_f32_e32 v3, 0.5, v20
	v_add_co_u32_e32 v1, vcc, s20, v1
	v_addc_co_u32_e32 v2, vcc, v4, v2, vcc
	v_add_u32_e32 v27, s30, v27
	;; [unrolled: 6-line block ×11, first 2 shown]
	global_store_dword v[1:2], v3, off
	v_lshlrev_b64 v[1:2], 2, v[27:28]
	v_mul_f32_e32 v3, 0.5, v26
	v_add_co_u32_e32 v1, vcc, s20, v1
	v_addc_co_u32_e32 v2, vcc, v4, v2, vcc
	global_store_dword v[1:2], v3, off
	buffer_load_dword v1, off, s[0:3], 0 offset:84
	v_add_u32_e32 v27, s30, v27
	v_lshlrev_b64 v[2:3], 2, v[27:28]
	v_mul_f32_e32 v4, 0.5, v22
	v_add_co_u32_e32 v2, vcc, s20, v2
	v_addc_co_u32_e32 v3, vcc, v5, v3, vcc
	v_add_u32_e32 v27, s30, v27
	global_store_dword v[2:3], v4, off
	v_lshlrev_b64 v[3:4], 2, v[27:28]
	buffer_load_dword v2, off, s[0:3], 0 offset:88
	buffer_load_dword v12, off, s[0:3], 0 offset:112
	v_add_co_u32_e32 v3, vcc, s20, v3
	v_mul_f32_e32 v5, 0.5, v16
	v_addc_co_u32_e32 v4, vcc, v6, v4, vcc
	global_store_dword v[3:4], v5, off
	buffer_load_dword v3, off, s[0:3], 0 offset:92
	v_add_u32_e32 v27, s30, v27
	v_lshlrev_b64 v[4:5], 2, v[27:28]
	v_mul_f32_e32 v6, 0.5, v10
	v_add_co_u32_e32 v4, vcc, s20, v4
	v_addc_co_u32_e32 v5, vcc, v7, v5, vcc
	global_store_dword v[4:5], v6, off
	buffer_load_dword v4, off, s[0:3], 0 offset:96
	v_add_u32_e32 v27, s30, v27
	v_lshlrev_b64 v[5:6], 2, v[27:28]
	v_add_u32_e32 v27, s30, v27
	v_add_co_u32_e32 v7, vcc, s20, v5
	buffer_load_dword v5, off, s[0:3], 0 offset:100
	buffer_load_dword v10, off, s[0:3], 0 offset:104
	v_addc_co_u32_e32 v8, vcc, v8, v6, vcc
	global_store_dword v[7:8], v9, off
	v_lshlrev_b64 v[6:7], 2, v[27:28]
	v_mov_b32_e32 v9, s21
	v_add_co_u32_e32 v6, vcc, s20, v6
	v_mul_f32_e32 v8, 0.5, v58
	v_addc_co_u32_e32 v7, vcc, v9, v7, vcc
	v_add_u32_e32 v27, s30, v27
	global_store_dword v[6:7], v8, off
	v_lshlrev_b64 v[6:7], 2, v[27:28]
	v_mul_f32_e32 v8, 0.5, v56
	v_add_co_u32_e32 v6, vcc, s20, v6
	v_addc_co_u32_e32 v7, vcc, v9, v7, vcc
	v_add_u32_e32 v27, s30, v27
	global_store_dword v[6:7], v8, off
	v_lshlrev_b64 v[6:7], 2, v[27:28]
	v_mul_f32_e32 v8, 0.5, v54
	v_add_co_u32_e32 v6, vcc, s20, v6
	v_addc_co_u32_e32 v7, vcc, v9, v7, vcc
	v_add_u32_e32 v27, s30, v27
	global_store_dword v[6:7], v8, off
	v_lshlrev_b64 v[6:7], 2, v[27:28]
	buffer_load_dword v9, off, s[0:3], 0 offset:116
	v_mov_b32_e32 v8, s21
	v_add_co_u32_e32 v6, vcc, s20, v6
	v_addc_co_u32_e32 v7, vcc, v8, v7, vcc
	v_add_u32_e32 v27, s30, v27
	global_store_dword v[6:7], v0, off
	buffer_load_dword v7, off, s[0:3], 0 offset:120
	s_waitcnt vmcnt(16)
	v_mul_f32_e32 v6, 0.5, v1
	v_lshlrev_b64 v[0:1], 2, v[27:28]
	v_add_u32_e32 v27, s30, v27
	v_add_co_u32_e32 v0, vcc, s20, v0
	v_addc_co_u32_e32 v1, vcc, v8, v1, vcc
	global_store_dword v[0:1], v6, off
	buffer_load_dword v6, off, s[0:3], 0 offset:124
	v_lshlrev_b64 v[0:1], 2, v[27:28]
	v_add_u32_e32 v27, s30, v27
	v_add_co_u32_e32 v0, vcc, s20, v0
	s_waitcnt vmcnt(16)
	v_mul_f32_e32 v2, 0.5, v2
	v_addc_co_u32_e32 v1, vcc, v8, v1, vcc
	global_store_dword v[0:1], v2, off
	v_lshlrev_b64 v[0:1], 2, v[27:28]
	v_add_u32_e32 v27, s30, v27
	s_waitcnt vmcnt(14)
	v_mul_f32_e32 v2, 0.5, v3
	v_mov_b32_e32 v3, s21
	v_add_co_u32_e32 v0, vcc, s20, v0
	v_addc_co_u32_e32 v1, vcc, v3, v1, vcc
	global_store_dword v[0:1], v2, off
	v_lshlrev_b64 v[0:1], 2, v[27:28]
	v_add_u32_e32 v27, s30, v27
	v_add_co_u32_e32 v0, vcc, s20, v0
	s_waitcnt vmcnt(13)
	v_mul_f32_e32 v2, 0.5, v4
	v_addc_co_u32_e32 v1, vcc, v3, v1, vcc
	global_store_dword v[0:1], v2, off
	v_lshlrev_b64 v[0:1], 2, v[27:28]
	s_waitcnt vmcnt(13)
	v_mul_f32_e32 v2, 0.5, v5
	v_add_co_u32_e32 v0, vcc, s20, v0
	v_addc_co_u32_e32 v1, vcc, v3, v1, vcc
	v_add_u32_e32 v27, s30, v27
	global_store_dword v[0:1], v2, off
	v_lshlrev_b64 v[0:1], 2, v[27:28]
	s_waitcnt vmcnt(13)
	v_mul_f32_e32 v2, 0.5, v10
	v_add_co_u32_e32 v0, vcc, s20, v0
	v_addc_co_u32_e32 v1, vcc, v3, v1, vcc
	v_add_u32_e32 v27, s30, v27
	global_store_dword v[0:1], v2, off
	v_lshlrev_b64 v[0:1], 2, v[27:28]
	v_mul_f32_e32 v2, 0.5, v11
	v_add_co_u32_e32 v0, vcc, s20, v0
	v_addc_co_u32_e32 v1, vcc, v3, v1, vcc
	v_add_u32_e32 v27, s30, v27
	global_store_dword v[0:1], v2, off
	v_lshlrev_b64 v[0:1], 2, v[27:28]
	;; [unrolled: 6-line block ×3, first 2 shown]
	s_waitcnt vmcnt(11)
	v_mul_f32_e32 v2, 0.5, v9
	v_add_co_u32_e32 v0, vcc, s20, v0
	v_addc_co_u32_e32 v1, vcc, v3, v1, vcc
	v_add_u32_e32 v27, s30, v27
	global_store_dword v[0:1], v2, off
	v_lshlrev_b64 v[0:1], 2, v[27:28]
	s_waitcnt vmcnt(10)
	v_mul_f32_e32 v2, 0.5, v7
	v_add_co_u32_e32 v0, vcc, s20, v0
	v_addc_co_u32_e32 v1, vcc, v3, v1, vcc
	v_add_u32_e32 v27, s30, v27
	global_store_dword v[0:1], v2, off
	v_lshlrev_b64 v[0:1], 2, v[27:28]
	v_add_co_u32_e32 v0, vcc, s20, v0
	v_addc_co_u32_e32 v1, vcc, v3, v1, vcc
	s_waitcnt vmcnt(9)
	v_mul_f32_e32 v2, 0.5, v6
	global_store_dword v[0:1], v2, off
.LBB5_32:
	s_endpgm
	.section	.rodata,"a",@progbits
	.p2align	6, 0x0
	.amdhsa_kernel _ZL11fasten_mainILm32EEviiPK4AtomS2_PKfS4_S4_S4_S4_S4_PfPK8FFParamsi
		.amdhsa_group_segment_fixed_size 0
		.amdhsa_private_segment_fixed_size 3232
		.amdhsa_kernarg_size 352
		.amdhsa_user_sgpr_count 6
		.amdhsa_user_sgpr_private_segment_buffer 1
		.amdhsa_user_sgpr_dispatch_ptr 0
		.amdhsa_user_sgpr_queue_ptr 0
		.amdhsa_user_sgpr_kernarg_segment_ptr 1
		.amdhsa_user_sgpr_dispatch_id 0
		.amdhsa_user_sgpr_flat_scratch_init 0
		.amdhsa_user_sgpr_private_segment_size 0
		.amdhsa_uses_dynamic_stack 0
		.amdhsa_system_sgpr_private_segment_wavefront_offset 1
		.amdhsa_system_sgpr_workgroup_id_x 1
		.amdhsa_system_sgpr_workgroup_id_y 0
		.amdhsa_system_sgpr_workgroup_id_z 0
		.amdhsa_system_sgpr_workgroup_info 0
		.amdhsa_system_vgpr_workitem_id 0
		.amdhsa_next_free_vgpr 64
		.amdhsa_next_free_sgpr 52
		.amdhsa_reserve_vcc 1
		.amdhsa_reserve_flat_scratch 0
		.amdhsa_float_round_mode_32 0
		.amdhsa_float_round_mode_16_64 0
		.amdhsa_float_denorm_mode_32 3
		.amdhsa_float_denorm_mode_16_64 3
		.amdhsa_dx10_clamp 1
		.amdhsa_ieee_mode 1
		.amdhsa_fp16_overflow 0
		.amdhsa_exception_fp_ieee_invalid_op 0
		.amdhsa_exception_fp_denorm_src 0
		.amdhsa_exception_fp_ieee_div_zero 0
		.amdhsa_exception_fp_ieee_overflow 0
		.amdhsa_exception_fp_ieee_underflow 0
		.amdhsa_exception_fp_ieee_inexact 0
		.amdhsa_exception_int_div_zero 0
	.end_amdhsa_kernel
	.section	.text._ZL11fasten_mainILm32EEviiPK4AtomS2_PKfS4_S4_S4_S4_S4_PfPK8FFParamsi,"axG",@progbits,_ZL11fasten_mainILm32EEviiPK4AtomS2_PKfS4_S4_S4_S4_S4_PfPK8FFParamsi,comdat
.Lfunc_end5:
	.size	_ZL11fasten_mainILm32EEviiPK4AtomS2_PKfS4_S4_S4_S4_S4_PfPK8FFParamsi, .Lfunc_end5-_ZL11fasten_mainILm32EEviiPK4AtomS2_PKfS4_S4_S4_S4_S4_PfPK8FFParamsi
                                        ; -- End function
	.set _ZL11fasten_mainILm32EEviiPK4AtomS2_PKfS4_S4_S4_S4_S4_PfPK8FFParamsi.num_vgpr, 64
	.set _ZL11fasten_mainILm32EEviiPK4AtomS2_PKfS4_S4_S4_S4_S4_PfPK8FFParamsi.num_agpr, 0
	.set _ZL11fasten_mainILm32EEviiPK4AtomS2_PKfS4_S4_S4_S4_S4_PfPK8FFParamsi.numbered_sgpr, 52
	.set _ZL11fasten_mainILm32EEviiPK4AtomS2_PKfS4_S4_S4_S4_S4_PfPK8FFParamsi.num_named_barrier, 0
	.set _ZL11fasten_mainILm32EEviiPK4AtomS2_PKfS4_S4_S4_S4_S4_PfPK8FFParamsi.private_seg_size, 3232
	.set _ZL11fasten_mainILm32EEviiPK4AtomS2_PKfS4_S4_S4_S4_S4_PfPK8FFParamsi.uses_vcc, 1
	.set _ZL11fasten_mainILm32EEviiPK4AtomS2_PKfS4_S4_S4_S4_S4_PfPK8FFParamsi.uses_flat_scratch, 0
	.set _ZL11fasten_mainILm32EEviiPK4AtomS2_PKfS4_S4_S4_S4_S4_PfPK8FFParamsi.has_dyn_sized_stack, 0
	.set _ZL11fasten_mainILm32EEviiPK4AtomS2_PKfS4_S4_S4_S4_S4_PfPK8FFParamsi.has_recursion, 0
	.set _ZL11fasten_mainILm32EEviiPK4AtomS2_PKfS4_S4_S4_S4_S4_PfPK8FFParamsi.has_indirect_call, 0
	.section	.AMDGPU.csdata,"",@progbits
; Kernel info:
; codeLenInByte = 28572
; TotalNumSgprs: 56
; NumVgprs: 64
; ScratchSize: 3232
; MemoryBound: 0
; FloatMode: 240
; IeeeMode: 1
; LDSByteSize: 0 bytes/workgroup (compile time only)
; SGPRBlocks: 6
; VGPRBlocks: 15
; NumSGPRsForWavesPerEU: 56
; NumVGPRsForWavesPerEU: 64
; Occupancy: 4
; WaveLimiterHint : 1
; COMPUTE_PGM_RSRC2:SCRATCH_EN: 1
; COMPUTE_PGM_RSRC2:USER_SGPR: 6
; COMPUTE_PGM_RSRC2:TRAP_HANDLER: 0
; COMPUTE_PGM_RSRC2:TGID_X_EN: 1
; COMPUTE_PGM_RSRC2:TGID_Y_EN: 0
; COMPUTE_PGM_RSRC2:TGID_Z_EN: 0
; COMPUTE_PGM_RSRC2:TIDIG_COMP_CNT: 0
	.section	.text._ZL11fasten_mainILm64EEviiPK4AtomS2_PKfS4_S4_S4_S4_S4_PfPK8FFParamsi,"axG",@progbits,_ZL11fasten_mainILm64EEviiPK4AtomS2_PKfS4_S4_S4_S4_S4_PfPK8FFParamsi,comdat
	.globl	_ZL11fasten_mainILm64EEviiPK4AtomS2_PKfS4_S4_S4_S4_S4_PfPK8FFParamsi ; -- Begin function _ZL11fasten_mainILm64EEviiPK4AtomS2_PKfS4_S4_S4_S4_S4_PfPK8FFParamsi
	.p2align	8
	.type	_ZL11fasten_mainILm64EEviiPK4AtomS2_PKfS4_S4_S4_S4_S4_PfPK8FFParamsi,@function
_ZL11fasten_mainILm64EEviiPK4AtomS2_PKfS4_S4_S4_S4_S4_PfPK8FFParamsi: ; @_ZL11fasten_mainILm64EEviiPK4AtomS2_PKfS4_S4_S4_S4_S4_PfPK8FFParamsi
; %bb.0:
	s_add_u32 s0, s0, s7
	s_load_dword s7, s[4:5], 0x6c
	s_load_dword s8, s[4:5], 0x58
	s_load_dwordx16 s[36:51], s[4:5], 0x8
	s_addc_u32 s1, s1, 0
	s_mov_b32 s19, 0
	s_waitcnt lgkmcnt(0)
	s_and_b32 s30, s7, 0xffff
	s_mul_i32 s6, s6, s30
	v_lshl_add_u32 v2, s6, 6, v0
	s_sub_i32 s6, s8, 64
	v_mov_b32_e32 v0, s6
	v_mov_b32_e32 v1, v2
	s_mov_b32 s6, 0x54800
	v_cmp_gt_i32_e64 s[16:17], s8, v2
	buffer_store_dword v1, off, s[0:3], s6  ; 4-byte Folded Spill
	s_nop 0
	buffer_store_dword v2, off, s[0:3], s6 offset:4 ; 4-byte Folded Spill
	s_lshl_b32 s18, s30, 2
	s_movk_i32 s20, 0x110
	s_brev_b32 s21, 18
	s_mov_b32 s22, 0xfe5163ab
	v_mov_b32_e32 v3, 0
	s_mov_b32 s23, 0x3c439041
	s_mov_b32 s24, 0xdb629599
	;; [unrolled: 1-line block ×9, first 2 shown]
	v_mov_b32_e32 v4, 0xbe2aaa9d
	v_mov_b32_e32 v5, 0x3d2aabf7
	;; [unrolled: 1-line block ×3, first 2 shown]
	s_movk_i32 s34, 0x1f8
	v_not_b32_e32 v7, 63
	v_not_b32_e32 v8, 31
	v_mov_b32_e32 v9, 0x7fc00000
	v_cndmask_b32_e64 v0, v0, v2, s[16:17]
	v_ashrrev_i32_e32 v1, 31, v0
	v_lshlrev_b64 v[0:1], 2, v[0:1]
	s_branch .LBB6_2
.LBB6_1:                                ;   in Loop: Header=BB6_2 Depth=1
	s_or_b64 exec, exec, s[6:7]
	v_mul_f32_e32 v26, v27, v27
	v_mov_b32_e32 v28, 0x3c0881c4
	v_fmac_f32_e32 v28, 0xb94c1982, v26
	v_fma_f32 v28, v26, v28, v4
	v_mul_f32_e32 v28, v26, v28
	v_fmac_f32_e32 v27, v27, v28
	v_mov_b32_e32 v28, 0xbab64f3b
	v_fmac_f32_e32 v28, 0x37d75334, v26
	v_fma_f32 v28, v26, v28, v5
	v_fma_f32 v28, v26, v28, v6
	v_fma_f32 v26, v26, v28, 1.0
	v_and_b32_e32 v28, 1, v25
	v_lshlrev_b32_e32 v25, 30, v25
	v_cmp_eq_u32_e32 vcc, 0, v28
	v_and_b32_e32 v25, 0x80000000, v25
	v_xor_b32_e32 v23, v23, v22
	v_cndmask_b32_e32 v26, v26, v27, vcc
	v_xor_b32_e32 v23, v23, v25
	v_xor_b32_e32 v23, v23, v26
	v_cmp_class_f32_e64 vcc, v22, s34
	v_cndmask_b32_e32 v22, v9, v23, vcc
	v_mul_f32_e32 v23, v21, v21
	v_mov_b32_e32 v25, 0x3c0881c4
	v_fmac_f32_e32 v25, 0xb94c1982, v23
	v_fma_f32 v25, v23, v25, v4
	v_mul_f32_e32 v25, v23, v25
	v_fmac_f32_e32 v21, v21, v25
	v_mov_b32_e32 v25, 0xbab64f3b
	v_fmac_f32_e32 v25, 0x37d75334, v23
	v_fma_f32 v25, v23, v25, v5
	v_fma_f32 v25, v23, v25, v6
	v_fma_f32 v23, v23, v25, 1.0
	v_and_b32_e32 v25, 1, v20
	v_cmp_eq_u32_e64 s[6:7], 0, v25
	v_lshlrev_b32_e32 v20, 30, v20
	v_cndmask_b32_e64 v21, -v21, v23, s[6:7]
	v_and_b32_e32 v20, 0x80000000, v20
	v_xor_b32_e32 v20, v20, v21
	v_mul_f32_e32 v21, v19, v19
	v_mov_b32_e32 v23, 0x3c0881c4
	v_fmac_f32_e32 v23, 0xb94c1982, v21
	v_fma_f32 v23, v21, v23, v4
	v_mul_f32_e32 v23, v21, v23
	v_fmac_f32_e32 v19, v19, v23
	v_mov_b32_e32 v23, 0xbab64f3b
	v_fmac_f32_e32 v23, 0x37d75334, v21
	v_fma_f32 v23, v21, v23, v5
	v_fma_f32 v23, v21, v23, v6
	v_fma_f32 v21, v21, v23, 1.0
	v_and_b32_e32 v23, 1, v18
	v_lshlrev_b32_e32 v18, 30, v18
	v_cmp_class_f32_e64 s[6:7], v16, s34
	v_cmp_eq_u32_e64 s[8:9], 0, v23
	v_and_b32_e32 v18, 0x80000000, v18
	v_xor_b32_e32 v16, v17, v16
	v_cndmask_b32_e64 v19, v21, v19, s[8:9]
	v_xor_b32_e32 v16, v16, v18
	v_xor_b32_e32 v16, v16, v19
	v_cndmask_b32_e64 v20, v9, v20, s[6:7]
	v_cndmask_b32_e64 v16, v9, v16, s[6:7]
	v_mov_b32_e32 v18, s47
	v_add_co_u32_e64 v17, s[6:7], s46, v0
	v_addc_co_u32_e64 v18, s[6:7], v18, v1, s[6:7]
	v_mul_f32_e32 v19, v15, v15
	global_load_dword v21, v[17:18], off
	v_mov_b32_e32 v17, 0x3c0881c4
	v_fmac_f32_e32 v17, 0xb94c1982, v19
	v_fma_f32 v23, v19, v17, v4
	v_mov_b32_e32 v18, s49
	v_add_co_u32_e64 v17, s[6:7], s48, v0
	v_addc_co_u32_e64 v18, s[6:7], v18, v1, s[6:7]
	global_load_dword v25, v[17:18], off
	v_mov_b32_e32 v18, s51
	v_add_co_u32_e64 v17, s[6:7], s50, v0
	v_addc_co_u32_e64 v18, s[6:7], v18, v1, s[6:7]
	global_load_dword v17, v[17:18], off
	v_mov_b32_e32 v18, 0xbab64f3b
	v_fmac_f32_e32 v18, 0x37d75334, v19
	v_fma_f32 v18, v19, v18, v5
	v_fma_f32 v18, v19, v18, v6
	v_mul_f32_e32 v23, v19, v23
	v_fma_f32 v18, v19, v18, 1.0
	v_and_b32_e32 v19, 1, v14
	v_fmac_f32_e32 v15, v15, v23
	v_cmp_eq_u32_e64 s[6:7], 0, v19
	v_lshlrev_b32_e32 v14, 30, v14
	v_cndmask_b32_e64 v15, -v15, v18, s[6:7]
	v_and_b32_e32 v14, 0x80000000, v14
	v_xor_b32_e32 v14, v14, v15
	v_mul_f32_e32 v15, v13, v13
	v_mov_b32_e32 v18, 0x3c0881c4
	v_fmac_f32_e32 v18, 0xb94c1982, v15
	v_fma_f32 v18, v15, v18, v4
	v_mul_f32_e32 v18, v15, v18
	v_fmac_f32_e32 v13, v13, v18
	v_mov_b32_e32 v18, 0xbab64f3b
	v_fmac_f32_e32 v18, 0x37d75334, v15
	v_fma_f32 v18, v15, v18, v5
	v_fma_f32 v18, v15, v18, v6
	v_fma_f32 v15, v15, v18, 1.0
	v_and_b32_e32 v18, 1, v12
	v_lshlrev_b32_e32 v12, 30, v12
	v_cmp_class_f32_e64 s[6:7], v10, s34
	v_and_b32_e32 v12, 0x80000000, v12
	v_xor_b32_e32 v10, v11, v10
	v_xor_b32_e32 v10, v10, v12
	v_mul_f32_e32 v11, v24, v24
	v_mov_b32_e32 v12, 0x3c0881c4
	v_fmac_f32_e32 v12, 0xb94c1982, v11
	v_fma_f32 v12, v11, v12, v4
	v_mul_f32_e32 v12, v11, v12
	v_fmac_f32_e32 v24, v24, v12
	v_mov_b32_e32 v12, 0xbab64f3b
	v_fmac_f32_e32 v12, 0x37d75334, v11
	v_cmp_eq_u32_e64 s[8:9], 0, v18
	v_fma_f32 v12, v11, v12, v5
	v_cndmask_b32_e64 v13, v15, v13, s[8:9]
	v_fma_f32 v12, v11, v12, v6
	v_xor_b32_e32 v10, v10, v13
	v_fma_f32 v11, v11, v12, 1.0
	v_and_b32_e32 v12, 1, v2
	v_cndmask_b32_e64 v14, v9, v14, s[6:7]
	v_cndmask_b32_e64 v10, v9, v10, s[6:7]
	v_cmp_eq_u32_e64 s[6:7], 0, v12
	v_lshlrev_b32_e32 v2, 30, v2
	v_cndmask_b32_e64 v11, -v24, v11, s[6:7]
	v_and_b32_e32 v2, 0x80000000, v2
	v_xor_b32_e32 v2, v2, v11
	v_cndmask_b32_e32 v2, v9, v2, vcc
	v_mul_f32_e32 v11, v20, v2
	v_mov_b32_e32 v12, s20
	buffer_store_dword v11, v12, s[0:3], 0 offen
	v_mul_f32_e32 v11, v10, v16
	v_mul_f32_e32 v13, v14, v22
	v_fma_f32 v13, v11, v2, -v13
	buffer_store_dword v13, v12, s[0:3], 0 offen offset:4
	v_mul_f32_e32 v13, v14, v16
	v_mul_f32_e32 v15, v13, v2
	v_fmac_f32_e32 v15, v10, v22
	buffer_store_dword v15, v12, s[0:3], 0 offen offset:8
	s_waitcnt vmcnt(5)
	buffer_store_dword v21, v12, s[0:3], 0 offen offset:12
	v_mul_f32_e32 v15, v20, v22
	buffer_store_dword v15, v12, s[0:3], 0 offen offset:16
	v_mul_f32_e32 v15, v14, v2
	v_mul_f32_e32 v2, v10, v2
	v_fmac_f32_e32 v15, v11, v22
	v_fma_f32 v2, v13, v22, -v2
	buffer_store_dword v15, v12, s[0:3], 0 offen offset:20
	buffer_store_dword v2, v12, s[0:3], 0 offen offset:24
	s_waitcnt vmcnt(8)
	buffer_store_dword v25, v12, s[0:3], 0 offen offset:28
	v_xor_b32_e32 v2, 0x80000000, v16
	buffer_store_dword v2, v12, s[0:3], 0 offen offset:32
	v_mul_f32_e32 v2, v10, v20
	buffer_store_dword v2, v12, s[0:3], 0 offen offset:36
	v_mul_f32_e32 v2, v14, v20
	buffer_store_dword v2, v12, s[0:3], 0 offen offset:40
	s_waitcnt vmcnt(11)
	buffer_store_dword v17, v12, s[0:3], 0 offen offset:44
	v_add_u32_e64 v2, s19, 16
	s_add_i32 s19, s19, 4
	s_add_u32 s40, s40, s18
	s_addc_u32 s41, s41, 0
	s_add_u32 s42, s42, s18
	s_addc_u32 s43, s43, 0
	;; [unrolled: 2-line block ×6, first 2 shown]
	s_add_i32 s20, s20, 48
	s_cmpk_lg_i32 s19, 0x100
	buffer_store_dword v3, v2, s[0:3], 0 offen
	s_cbranch_scc0 .LBB6_26
.LBB6_2:                                ; =>This Inner Loop Header: Depth=1
	v_mov_b32_e32 v2, s41
	v_add_co_u32_e32 v10, vcc, s40, v0
	v_addc_co_u32_e32 v11, vcc, v2, v1, vcc
	global_load_dword v10, v[10:11], off
                                        ; implicit-def: $vgpr13
	s_waitcnt vmcnt(0)
	v_and_b32_e32 v11, 0x7fffffff, v10
	v_lshrrev_b32_e32 v2, 23, v11
	v_and_b32_e32 v12, 0x7fffff, v11
	v_cmp_nlt_f32_e64 s[12:13], |v10|, s21
	v_add_u32_e32 v17, 0xffffff88, v2
	v_or_b32_e32 v16, 0x800000, v12
                                        ; implicit-def: $vgpr12
	s_and_saveexec_b64 s[6:7], s[12:13]
	s_xor_b64 s[14:15], exec, s[6:7]
	s_cbranch_execz .LBB6_4
; %bb.3:                                ;   in Loop: Header=BB6_2 Depth=1
	v_mad_u64_u32 v[12:13], s[6:7], v16, s22, 0
	v_cmp_lt_u32_e32 vcc, 63, v17
	v_mov_b32_e32 v2, v13
	v_mad_u64_u32 v[13:14], s[6:7], v16, s23, v[2:3]
	v_mov_b32_e32 v2, v14
	v_mad_u64_u32 v[14:15], s[6:7], v16, s24, v[2:3]
	;; [unrolled: 2-line block ×3, first 2 shown]
	v_cndmask_b32_e32 v2, 0, v7, vcc
	v_add_u32_e32 v15, v2, v17
	v_mov_b32_e32 v2, v19
	v_mad_u64_u32 v[19:20], s[6:7], v16, s26, v[2:3]
	v_cmp_lt_u32_e64 s[6:7], 31, v15
	v_cndmask_b32_e64 v2, 0, v8, s[6:7]
	v_add_u32_e32 v15, v2, v15
	v_mov_b32_e32 v2, v20
	v_mad_u64_u32 v[20:21], s[8:9], v16, s27, v[2:3]
	v_cmp_lt_u32_e64 s[8:9], 31, v15
	v_cndmask_b32_e64 v2, 0, v8, s[8:9]
	v_add_u32_e32 v15, v2, v15
	v_mov_b32_e32 v2, v21
	v_mad_u64_u32 v[21:22], s[10:11], v16, s28, v[2:3]
	v_cndmask_b32_e32 v2, v19, v14, vcc
	v_cndmask_b32_e32 v23, v20, v18, vcc
	;; [unrolled: 1-line block ×4, first 2 shown]
	v_cndmask_b32_e64 v24, v23, v2, s[6:7]
	v_cndmask_b32_e64 v21, v19, v23, s[6:7]
	;; [unrolled: 1-line block ×3, first 2 shown]
	v_cndmask_b32_e32 v13, v18, v13, vcc
	v_cndmask_b32_e64 v19, v19, v21, s[8:9]
	v_cndmask_b32_e64 v20, v21, v24, s[8:9]
	v_sub_u32_e32 v21, 32, v15
	v_cndmask_b32_e64 v2, v2, v13, s[6:7]
	v_alignbit_b32 v22, v19, v20, v21
	v_cmp_eq_u32_e64 s[10:11], 0, v15
	v_cndmask_b32_e64 v18, v24, v2, s[8:9]
	v_cndmask_b32_e64 v15, v22, v19, s[10:11]
	v_alignbit_b32 v19, v20, v18, v21
	v_cndmask_b32_e32 v12, v14, v12, vcc
	v_cndmask_b32_e64 v19, v19, v20, s[10:11]
	v_bfe_u32 v23, v15, 29, 1
	v_cndmask_b32_e64 v12, v13, v12, s[6:7]
	v_alignbit_b32 v20, v15, v19, 30
	v_sub_u32_e32 v24, 0, v23
	v_cndmask_b32_e64 v2, v2, v12, s[8:9]
	v_xor_b32_e32 v20, v20, v24
	v_alignbit_b32 v12, v18, v2, v21
	v_cndmask_b32_e64 v12, v12, v18, s[10:11]
	v_ffbh_u32_e32 v14, v20
	v_alignbit_b32 v13, v19, v12, 30
	v_min_u32_e32 v14, 32, v14
	v_alignbit_b32 v2, v12, v2, 30
	v_xor_b32_e32 v13, v13, v24
	v_sub_u32_e32 v18, 31, v14
	v_xor_b32_e32 v2, v2, v24
	v_alignbit_b32 v19, v20, v13, v18
	v_alignbit_b32 v2, v13, v2, v18
	;; [unrolled: 1-line block ×3, first 2 shown]
	v_ffbh_u32_e32 v13, v12
	v_min_u32_e32 v13, 32, v13
	v_lshrrev_b32_e32 v22, 29, v15
	v_not_b32_e32 v18, v13
	v_alignbit_b32 v2, v12, v2, v18
	v_lshlrev_b32_e32 v12, 31, v22
	v_or_b32_e32 v18, 0x33000000, v12
	v_add_lshl_u32 v13, v13, v14, 23
	v_lshrrev_b32_e32 v2, 9, v2
	v_sub_u32_e32 v13, v18, v13
	v_or_b32_e32 v12, 0.5, v12
	v_lshlrev_b32_e32 v14, 23, v14
	v_or_b32_e32 v2, v13, v2
	v_lshrrev_b32_e32 v13, 9, v19
	v_sub_u32_e32 v12, v12, v14
	v_or_b32_e32 v12, v13, v12
	v_mul_f32_e32 v13, 0x3fc90fda, v12
	v_fma_f32 v14, v12, s29, -v13
	v_fmac_f32_e32 v14, 0x33a22168, v12
	v_fmac_f32_e32 v14, 0x3fc90fda, v2
	v_lshrrev_b32_e32 v2, 30, v15
	v_add_f32_e32 v13, v13, v14
	v_add_u32_e32 v12, v23, v2
.LBB6_4:                                ;   in Loop: Header=BB6_2 Depth=1
	s_or_saveexec_b64 s[6:7], s[14:15]
	v_mul_f32_e64 v2, |v10|, s31
	v_rndne_f32_e32 v2, v2
	s_xor_b64 exec, exec, s[6:7]
; %bb.5:                                ;   in Loop: Header=BB6_2 Depth=1
	v_cvt_i32_f32_e32 v12, v2
	v_fma_f32 v13, v2, s33, |v10|
	v_fmac_f32_e32 v13, 0xb3a22168, v2
	v_fmac_f32_e32 v13, 0xa7c234c4, v2
; %bb.6:                                ;   in Loop: Header=BB6_2 Depth=1
	s_or_b64 exec, exec, s[6:7]
                                        ; implicit-def: $vgpr14
                                        ; implicit-def: $vgpr15
	s_and_saveexec_b64 s[6:7], s[12:13]
	s_xor_b64 s[12:13], exec, s[6:7]
	s_cbranch_execz .LBB6_8
; %bb.7:                                ;   in Loop: Header=BB6_2 Depth=1
	v_mad_u64_u32 v[14:15], s[6:7], v16, s22, 0
	v_cmp_lt_u32_e32 vcc, 63, v17
	v_mov_b32_e32 v2, v15
	v_mad_u64_u32 v[18:19], s[6:7], v16, s23, v[2:3]
	v_mov_b32_e32 v2, v19
	v_mad_u64_u32 v[19:20], s[6:7], v16, s24, v[2:3]
	;; [unrolled: 2-line block ×3, first 2 shown]
	v_cndmask_b32_e32 v2, 0, v7, vcc
	v_add_u32_e32 v15, v2, v17
	v_mov_b32_e32 v2, v21
	v_mad_u64_u32 v[21:22], s[6:7], v16, s26, v[2:3]
	v_cmp_lt_u32_e64 s[6:7], 31, v15
	v_cndmask_b32_e64 v2, 0, v8, s[6:7]
	v_add_u32_e32 v15, v2, v15
	v_mov_b32_e32 v2, v22
	v_mad_u64_u32 v[22:23], s[8:9], v16, s27, v[2:3]
	v_cmp_lt_u32_e64 s[8:9], 31, v15
	v_cndmask_b32_e64 v2, 0, v8, s[8:9]
	v_add_u32_e32 v17, v2, v15
	v_mov_b32_e32 v2, v23
	v_mad_u64_u32 v[15:16], s[10:11], v16, s28, v[2:3]
	v_cndmask_b32_e32 v2, v21, v19, vcc
	v_cndmask_b32_e32 v23, v22, v20, vcc
	;; [unrolled: 1-line block ×4, first 2 shown]
	v_cndmask_b32_e64 v24, v23, v2, s[6:7]
	v_cndmask_b32_e64 v21, v15, v23, s[6:7]
	;; [unrolled: 1-line block ×5, first 2 shown]
	v_sub_u32_e32 v21, 32, v17
	v_alignbit_b32 v22, v15, v16, v21
	v_cmp_eq_u32_e64 s[10:11], 0, v17
	v_cndmask_b32_e64 v17, v22, v15, s[10:11]
	v_cndmask_b32_e32 v15, v20, v18, vcc
	v_cndmask_b32_e64 v2, v2, v15, s[6:7]
	v_cndmask_b32_e64 v18, v24, v2, s[8:9]
	v_cndmask_b32_e32 v14, v19, v14, vcc
	v_alignbit_b32 v20, v16, v18, v21
	v_cndmask_b32_e64 v14, v15, v14, s[6:7]
	v_cndmask_b32_e64 v16, v20, v16, s[10:11]
	v_bfe_u32 v23, v17, 29, 1
	v_cndmask_b32_e64 v2, v2, v14, s[8:9]
	v_alignbit_b32 v20, v17, v16, 30
	v_sub_u32_e32 v24, 0, v23
	v_alignbit_b32 v14, v18, v2, v21
	v_xor_b32_e32 v20, v20, v24
	v_cndmask_b32_e64 v14, v14, v18, s[10:11]
	v_alignbit_b32 v15, v16, v14, 30
	v_ffbh_u32_e32 v16, v20
	v_min_u32_e32 v16, 32, v16
	v_alignbit_b32 v2, v14, v2, 30
	v_xor_b32_e32 v15, v15, v24
	v_sub_u32_e32 v18, 31, v16
	v_xor_b32_e32 v2, v2, v24
	v_alignbit_b32 v19, v20, v15, v18
	v_alignbit_b32 v2, v15, v2, v18
	;; [unrolled: 1-line block ×3, first 2 shown]
	v_ffbh_u32_e32 v15, v14
	v_min_u32_e32 v15, 32, v15
	v_lshrrev_b32_e32 v22, 29, v17
	v_not_b32_e32 v18, v15
	v_alignbit_b32 v2, v14, v2, v18
	v_lshlrev_b32_e32 v14, 31, v22
	v_or_b32_e32 v18, 0x33000000, v14
	v_add_lshl_u32 v15, v15, v16, 23
	v_lshrrev_b32_e32 v2, 9, v2
	v_sub_u32_e32 v15, v18, v15
	v_or_b32_e32 v14, 0.5, v14
	v_lshlrev_b32_e32 v16, 23, v16
	v_or_b32_e32 v2, v15, v2
	v_lshrrev_b32_e32 v15, 9, v19
	v_sub_u32_e32 v14, v14, v16
	v_or_b32_e32 v14, v15, v14
	v_mul_f32_e32 v15, 0x3fc90fda, v14
	v_fma_f32 v16, v14, s29, -v15
	v_fmac_f32_e32 v16, 0x33a22168, v14
	v_fmac_f32_e32 v16, 0x3fc90fda, v2
	v_lshrrev_b32_e32 v2, 30, v17
	v_add_f32_e32 v15, v15, v16
	v_add_u32_e32 v14, v23, v2
                                        ; implicit-def: $vgpr2
	s_andn2_saveexec_b64 s[6:7], s[12:13]
	s_cbranch_execnz .LBB6_9
	s_branch .LBB6_10
.LBB6_8:                                ;   in Loop: Header=BB6_2 Depth=1
	s_andn2_saveexec_b64 s[6:7], s[12:13]
.LBB6_9:                                ;   in Loop: Header=BB6_2 Depth=1
	v_cvt_i32_f32_e32 v14, v2
	v_fma_f32 v15, v2, s33, |v10|
	v_fmac_f32_e32 v15, 0xb3a22168, v2
	v_fmac_f32_e32 v15, 0xa7c234c4, v2
.LBB6_10:                               ;   in Loop: Header=BB6_2 Depth=1
	s_or_b64 exec, exec, s[6:7]
	v_mov_b32_e32 v2, s43
	v_add_co_u32_e32 v16, vcc, s42, v0
	v_addc_co_u32_e32 v17, vcc, v2, v1, vcc
	global_load_dword v16, v[16:17], off
                                        ; implicit-def: $vgpr19
	s_waitcnt vmcnt(0)
	v_and_b32_e32 v17, 0x7fffffff, v16
	v_lshrrev_b32_e32 v2, 23, v17
	v_and_b32_e32 v18, 0x7fffff, v17
	v_cmp_nlt_f32_e64 s[12:13], |v16|, s21
	v_add_u32_e32 v23, 0xffffff88, v2
	v_or_b32_e32 v22, 0x800000, v18
                                        ; implicit-def: $vgpr18
	s_and_saveexec_b64 s[6:7], s[12:13]
	s_xor_b64 s[14:15], exec, s[6:7]
	s_cbranch_execz .LBB6_12
; %bb.11:                               ;   in Loop: Header=BB6_2 Depth=1
	v_mad_u64_u32 v[18:19], s[6:7], v22, s22, 0
	v_cmp_lt_u32_e32 vcc, 63, v23
	v_mov_b32_e32 v2, v19
	v_mad_u64_u32 v[19:20], s[6:7], v22, s23, v[2:3]
	v_mov_b32_e32 v2, v20
	v_mad_u64_u32 v[20:21], s[6:7], v22, s24, v[2:3]
	;; [unrolled: 2-line block ×3, first 2 shown]
	v_cndmask_b32_e32 v2, 0, v7, vcc
	v_add_u32_e32 v21, v2, v23
	v_mov_b32_e32 v2, v25
	v_mad_u64_u32 v[25:26], s[6:7], v22, s26, v[2:3]
	v_cmp_lt_u32_e64 s[6:7], 31, v21
	v_cndmask_b32_e64 v2, 0, v8, s[6:7]
	v_add_u32_e32 v21, v2, v21
	v_mov_b32_e32 v2, v26
	v_mad_u64_u32 v[26:27], s[8:9], v22, s27, v[2:3]
	v_cmp_lt_u32_e64 s[8:9], 31, v21
	v_cndmask_b32_e64 v2, 0, v8, s[8:9]
	v_add_u32_e32 v21, v2, v21
	v_mov_b32_e32 v2, v27
	v_mad_u64_u32 v[27:28], s[10:11], v22, s28, v[2:3]
	v_cndmask_b32_e32 v2, v25, v20, vcc
	v_cndmask_b32_e32 v29, v26, v24, vcc
	;; [unrolled: 1-line block ×4, first 2 shown]
	v_cndmask_b32_e64 v30, v29, v2, s[6:7]
	v_cndmask_b32_e64 v27, v25, v29, s[6:7]
	;; [unrolled: 1-line block ×3, first 2 shown]
	v_cndmask_b32_e32 v19, v24, v19, vcc
	v_cndmask_b32_e64 v25, v25, v27, s[8:9]
	v_cndmask_b32_e64 v26, v27, v30, s[8:9]
	v_sub_u32_e32 v27, 32, v21
	v_cndmask_b32_e64 v2, v2, v19, s[6:7]
	v_alignbit_b32 v28, v25, v26, v27
	v_cmp_eq_u32_e64 s[10:11], 0, v21
	v_cndmask_b32_e64 v24, v30, v2, s[8:9]
	v_cndmask_b32_e64 v21, v28, v25, s[10:11]
	v_alignbit_b32 v25, v26, v24, v27
	v_cndmask_b32_e32 v18, v20, v18, vcc
	v_cndmask_b32_e64 v25, v25, v26, s[10:11]
	v_bfe_u32 v29, v21, 29, 1
	v_cndmask_b32_e64 v18, v19, v18, s[6:7]
	v_alignbit_b32 v26, v21, v25, 30
	v_sub_u32_e32 v30, 0, v29
	v_cndmask_b32_e64 v2, v2, v18, s[8:9]
	v_xor_b32_e32 v26, v26, v30
	v_alignbit_b32 v18, v24, v2, v27
	v_cndmask_b32_e64 v18, v18, v24, s[10:11]
	v_ffbh_u32_e32 v20, v26
	v_alignbit_b32 v19, v25, v18, 30
	v_min_u32_e32 v20, 32, v20
	v_alignbit_b32 v2, v18, v2, 30
	v_xor_b32_e32 v19, v19, v30
	v_sub_u32_e32 v24, 31, v20
	v_xor_b32_e32 v2, v2, v30
	v_alignbit_b32 v25, v26, v19, v24
	v_alignbit_b32 v2, v19, v2, v24
	;; [unrolled: 1-line block ×3, first 2 shown]
	v_ffbh_u32_e32 v19, v18
	v_min_u32_e32 v19, 32, v19
	v_lshrrev_b32_e32 v28, 29, v21
	v_not_b32_e32 v24, v19
	v_alignbit_b32 v2, v18, v2, v24
	v_lshlrev_b32_e32 v18, 31, v28
	v_or_b32_e32 v24, 0x33000000, v18
	v_add_lshl_u32 v19, v19, v20, 23
	v_lshrrev_b32_e32 v2, 9, v2
	v_sub_u32_e32 v19, v24, v19
	v_or_b32_e32 v18, 0.5, v18
	v_lshlrev_b32_e32 v20, 23, v20
	v_or_b32_e32 v2, v19, v2
	v_lshrrev_b32_e32 v19, 9, v25
	v_sub_u32_e32 v18, v18, v20
	v_or_b32_e32 v18, v19, v18
	v_mul_f32_e32 v19, 0x3fc90fda, v18
	v_fma_f32 v20, v18, s29, -v19
	v_fmac_f32_e32 v20, 0x33a22168, v18
	v_fmac_f32_e32 v20, 0x3fc90fda, v2
	v_lshrrev_b32_e32 v2, 30, v21
	v_add_f32_e32 v19, v19, v20
	v_add_u32_e32 v18, v29, v2
.LBB6_12:                               ;   in Loop: Header=BB6_2 Depth=1
	s_or_saveexec_b64 s[6:7], s[14:15]
	v_mul_f32_e64 v2, |v16|, s31
	v_rndne_f32_e32 v2, v2
	s_xor_b64 exec, exec, s[6:7]
; %bb.13:                               ;   in Loop: Header=BB6_2 Depth=1
	v_cvt_i32_f32_e32 v18, v2
	v_fma_f32 v19, v2, s33, |v16|
	v_fmac_f32_e32 v19, 0xb3a22168, v2
	v_fmac_f32_e32 v19, 0xa7c234c4, v2
; %bb.14:                               ;   in Loop: Header=BB6_2 Depth=1
	s_or_b64 exec, exec, s[6:7]
                                        ; implicit-def: $vgpr20
                                        ; implicit-def: $vgpr21
	s_and_saveexec_b64 s[6:7], s[12:13]
	s_xor_b64 s[12:13], exec, s[6:7]
	s_cbranch_execz .LBB6_16
; %bb.15:                               ;   in Loop: Header=BB6_2 Depth=1
	v_mad_u64_u32 v[20:21], s[6:7], v22, s22, 0
	v_cmp_lt_u32_e32 vcc, 63, v23
	v_mov_b32_e32 v2, v21
	v_mad_u64_u32 v[24:25], s[6:7], v22, s23, v[2:3]
	v_mov_b32_e32 v2, v25
	v_mad_u64_u32 v[25:26], s[6:7], v22, s24, v[2:3]
	;; [unrolled: 2-line block ×3, first 2 shown]
	v_cndmask_b32_e32 v2, 0, v7, vcc
	v_add_u32_e32 v21, v2, v23
	v_mov_b32_e32 v2, v27
	v_mad_u64_u32 v[27:28], s[6:7], v22, s26, v[2:3]
	v_cmp_lt_u32_e64 s[6:7], 31, v21
	v_cndmask_b32_e64 v2, 0, v8, s[6:7]
	v_add_u32_e32 v21, v2, v21
	v_mov_b32_e32 v2, v28
	v_mad_u64_u32 v[28:29], s[8:9], v22, s27, v[2:3]
	v_cmp_lt_u32_e64 s[8:9], 31, v21
	v_cndmask_b32_e64 v2, 0, v8, s[8:9]
	v_add_u32_e32 v23, v2, v21
	v_mov_b32_e32 v2, v29
	v_mad_u64_u32 v[21:22], s[10:11], v22, s28, v[2:3]
	v_cndmask_b32_e32 v2, v27, v25, vcc
	v_cndmask_b32_e32 v29, v28, v26, vcc
	;; [unrolled: 1-line block ×4, first 2 shown]
	v_cndmask_b32_e64 v30, v29, v2, s[6:7]
	v_cndmask_b32_e64 v27, v21, v29, s[6:7]
	v_cndmask_b32_e64 v21, v22, v21, s[6:7]
	v_cndmask_b32_e64 v21, v21, v27, s[8:9]
	v_cndmask_b32_e64 v22, v27, v30, s[8:9]
	v_sub_u32_e32 v27, 32, v23
	v_alignbit_b32 v28, v21, v22, v27
	v_cmp_eq_u32_e64 s[10:11], 0, v23
	v_cndmask_b32_e64 v23, v28, v21, s[10:11]
	v_cndmask_b32_e32 v21, v26, v24, vcc
	v_cndmask_b32_e64 v2, v2, v21, s[6:7]
	v_cndmask_b32_e64 v24, v30, v2, s[8:9]
	v_cndmask_b32_e32 v20, v25, v20, vcc
	v_alignbit_b32 v26, v22, v24, v27
	v_cndmask_b32_e64 v20, v21, v20, s[6:7]
	v_cndmask_b32_e64 v22, v26, v22, s[10:11]
	v_bfe_u32 v29, v23, 29, 1
	v_cndmask_b32_e64 v2, v2, v20, s[8:9]
	v_alignbit_b32 v26, v23, v22, 30
	v_sub_u32_e32 v30, 0, v29
	v_alignbit_b32 v20, v24, v2, v27
	v_xor_b32_e32 v26, v26, v30
	v_cndmask_b32_e64 v20, v20, v24, s[10:11]
	v_alignbit_b32 v21, v22, v20, 30
	v_ffbh_u32_e32 v22, v26
	v_min_u32_e32 v22, 32, v22
	v_alignbit_b32 v2, v20, v2, 30
	v_xor_b32_e32 v21, v21, v30
	v_sub_u32_e32 v24, 31, v22
	v_xor_b32_e32 v2, v2, v30
	v_alignbit_b32 v25, v26, v21, v24
	v_alignbit_b32 v2, v21, v2, v24
	;; [unrolled: 1-line block ×3, first 2 shown]
	v_ffbh_u32_e32 v21, v20
	v_min_u32_e32 v21, 32, v21
	v_lshrrev_b32_e32 v28, 29, v23
	v_not_b32_e32 v24, v21
	v_alignbit_b32 v2, v20, v2, v24
	v_lshlrev_b32_e32 v20, 31, v28
	v_or_b32_e32 v24, 0x33000000, v20
	v_add_lshl_u32 v21, v21, v22, 23
	v_lshrrev_b32_e32 v2, 9, v2
	v_sub_u32_e32 v21, v24, v21
	v_or_b32_e32 v20, 0.5, v20
	v_lshlrev_b32_e32 v22, 23, v22
	v_or_b32_e32 v2, v21, v2
	v_lshrrev_b32_e32 v21, 9, v25
	v_sub_u32_e32 v20, v20, v22
	v_or_b32_e32 v20, v21, v20
	v_mul_f32_e32 v21, 0x3fc90fda, v20
	v_fma_f32 v22, v20, s29, -v21
	v_fmac_f32_e32 v22, 0x33a22168, v20
	v_fmac_f32_e32 v22, 0x3fc90fda, v2
	v_lshrrev_b32_e32 v2, 30, v23
	v_add_f32_e32 v21, v21, v22
	v_add_u32_e32 v20, v29, v2
                                        ; implicit-def: $vgpr2
	s_andn2_saveexec_b64 s[6:7], s[12:13]
	s_cbranch_execnz .LBB6_17
	s_branch .LBB6_18
.LBB6_16:                               ;   in Loop: Header=BB6_2 Depth=1
	s_andn2_saveexec_b64 s[6:7], s[12:13]
.LBB6_17:                               ;   in Loop: Header=BB6_2 Depth=1
	v_cvt_i32_f32_e32 v20, v2
	v_fma_f32 v21, v2, s33, |v16|
	v_fmac_f32_e32 v21, 0xb3a22168, v2
	v_fmac_f32_e32 v21, 0xa7c234c4, v2
.LBB6_18:                               ;   in Loop: Header=BB6_2 Depth=1
	s_or_b64 exec, exec, s[6:7]
	v_mov_b32_e32 v2, s45
	v_add_co_u32_e32 v22, vcc, s44, v0
	v_addc_co_u32_e32 v23, vcc, v2, v1, vcc
	global_load_dword v22, v[22:23], off
                                        ; implicit-def: $vgpr25
                                        ; implicit-def: $vgpr27
	s_waitcnt vmcnt(0)
	v_and_b32_e32 v23, 0x7fffffff, v22
	v_lshrrev_b32_e32 v2, 23, v23
	v_and_b32_e32 v24, 0x7fffff, v23
	v_cmp_nlt_f32_e64 s[12:13], |v22|, s21
	v_add_u32_e32 v28, 0xffffff88, v2
	v_or_b32_e32 v26, 0x800000, v24
	s_and_saveexec_b64 s[6:7], s[12:13]
	s_xor_b64 s[14:15], exec, s[6:7]
	s_cbranch_execz .LBB6_20
; %bb.19:                               ;   in Loop: Header=BB6_2 Depth=1
	v_mad_u64_u32 v[24:25], s[6:7], v26, s22, 0
	v_cmp_lt_u32_e32 vcc, 63, v28
	v_mov_b32_e32 v2, v25
	v_mad_u64_u32 v[29:30], s[6:7], v26, s23, v[2:3]
	v_mov_b32_e32 v2, v30
	v_mad_u64_u32 v[30:31], s[6:7], v26, s24, v[2:3]
	;; [unrolled: 2-line block ×3, first 2 shown]
	v_cndmask_b32_e32 v2, 0, v7, vcc
	v_add_u32_e32 v25, v2, v28
	v_mov_b32_e32 v2, v32
	v_mad_u64_u32 v[32:33], s[6:7], v26, s26, v[2:3]
	v_cmp_lt_u32_e64 s[6:7], 31, v25
	v_cndmask_b32_e64 v2, 0, v8, s[6:7]
	v_add_u32_e32 v25, v2, v25
	v_mov_b32_e32 v2, v33
	v_mad_u64_u32 v[33:34], s[8:9], v26, s27, v[2:3]
	v_cmp_lt_u32_e64 s[8:9], 31, v25
	v_cndmask_b32_e64 v2, 0, v8, s[8:9]
	v_add_u32_e32 v25, v2, v25
	v_mov_b32_e32 v2, v34
	v_mad_u64_u32 v[34:35], s[10:11], v26, s28, v[2:3]
	v_cndmask_b32_e32 v2, v32, v30, vcc
	v_cndmask_b32_e32 v27, v33, v31, vcc
	;; [unrolled: 1-line block ×4, first 2 shown]
	v_cndmask_b32_e64 v36, v27, v2, s[6:7]
	v_cndmask_b32_e64 v27, v32, v27, s[6:7]
	;; [unrolled: 1-line block ×3, first 2 shown]
	v_cndmask_b32_e32 v29, v31, v29, vcc
	v_cndmask_b32_e64 v32, v32, v27, s[8:9]
	v_cndmask_b32_e64 v27, v27, v36, s[8:9]
	v_sub_u32_e32 v33, 32, v25
	v_cndmask_b32_e64 v2, v2, v29, s[6:7]
	v_alignbit_b32 v34, v32, v27, v33
	v_cmp_eq_u32_e64 s[10:11], 0, v25
	v_cndmask_b32_e64 v31, v36, v2, s[8:9]
	v_cndmask_b32_e64 v25, v34, v32, s[10:11]
	v_alignbit_b32 v32, v27, v31, v33
	v_cndmask_b32_e32 v24, v30, v24, vcc
	v_cndmask_b32_e64 v27, v32, v27, s[10:11]
	v_bfe_u32 v35, v25, 29, 1
	v_cndmask_b32_e64 v24, v29, v24, s[6:7]
	v_alignbit_b32 v32, v25, v27, 30
	v_sub_u32_e32 v36, 0, v35
	v_cndmask_b32_e64 v2, v2, v24, s[8:9]
	v_xor_b32_e32 v32, v32, v36
	v_alignbit_b32 v24, v31, v2, v33
	v_cndmask_b32_e64 v24, v24, v31, s[10:11]
	v_ffbh_u32_e32 v29, v32
	v_alignbit_b32 v27, v27, v24, 30
	v_min_u32_e32 v29, 32, v29
	v_alignbit_b32 v2, v24, v2, 30
	v_xor_b32_e32 v27, v27, v36
	v_sub_u32_e32 v30, 31, v29
	v_xor_b32_e32 v2, v2, v36
	v_alignbit_b32 v31, v32, v27, v30
	v_alignbit_b32 v2, v27, v2, v30
	;; [unrolled: 1-line block ×3, first 2 shown]
	v_ffbh_u32_e32 v27, v24
	v_min_u32_e32 v27, 32, v27
	v_lshrrev_b32_e32 v34, 29, v25
	v_not_b32_e32 v30, v27
	v_alignbit_b32 v2, v24, v2, v30
	v_lshlrev_b32_e32 v24, 31, v34
	v_or_b32_e32 v30, 0x33000000, v24
	v_add_lshl_u32 v27, v27, v29, 23
	v_lshrrev_b32_e32 v2, 9, v2
	v_sub_u32_e32 v27, v30, v27
	v_or_b32_e32 v24, 0.5, v24
	v_lshlrev_b32_e32 v29, 23, v29
	v_or_b32_e32 v2, v27, v2
	v_lshrrev_b32_e32 v27, 9, v31
	v_sub_u32_e32 v24, v24, v29
	v_or_b32_e32 v24, v27, v24
	v_mul_f32_e32 v27, 0x3fc90fda, v24
	v_fma_f32 v29, v24, s29, -v27
	v_fmac_f32_e32 v29, 0x33a22168, v24
	v_fmac_f32_e32 v29, 0x3fc90fda, v2
	v_lshrrev_b32_e32 v2, 30, v25
	v_add_f32_e32 v27, v27, v29
	v_add_u32_e32 v25, v35, v2
.LBB6_20:                               ;   in Loop: Header=BB6_2 Depth=1
	s_or_saveexec_b64 s[6:7], s[14:15]
	v_mul_f32_e64 v2, |v22|, s31
	v_rndne_f32_e32 v29, v2
	s_xor_b64 exec, exec, s[6:7]
; %bb.21:                               ;   in Loop: Header=BB6_2 Depth=1
	v_cvt_i32_f32_e32 v25, v29
	v_fma_f32 v27, v29, s33, |v22|
	v_fmac_f32_e32 v27, 0xb3a22168, v29
	v_fmac_f32_e32 v27, 0xa7c234c4, v29
; %bb.22:                               ;   in Loop: Header=BB6_2 Depth=1
	s_or_b64 exec, exec, s[6:7]
                                        ; implicit-def: $vgpr2
                                        ; implicit-def: $vgpr24
	s_and_saveexec_b64 s[6:7], s[12:13]
	s_xor_b64 s[12:13], exec, s[6:7]
	s_cbranch_execz .LBB6_24
; %bb.23:                               ;   in Loop: Header=BB6_2 Depth=1
	v_mad_u64_u32 v[29:30], s[6:7], v26, s22, 0
	v_cmp_lt_u32_e32 vcc, 63, v28
	v_mov_b32_e32 v2, v30
	v_mad_u64_u32 v[30:31], s[6:7], v26, s23, v[2:3]
	v_mov_b32_e32 v2, v31
	v_mad_u64_u32 v[31:32], s[6:7], v26, s24, v[2:3]
	;; [unrolled: 2-line block ×3, first 2 shown]
	v_cndmask_b32_e32 v2, 0, v7, vcc
	v_add_u32_e32 v24, v2, v28
	v_mov_b32_e32 v2, v33
	v_mad_u64_u32 v[33:34], s[6:7], v26, s26, v[2:3]
	v_cmp_lt_u32_e64 s[6:7], 31, v24
	v_cndmask_b32_e64 v2, 0, v8, s[6:7]
	v_add_u32_e32 v24, v2, v24
	v_mov_b32_e32 v2, v34
	v_mad_u64_u32 v[34:35], s[8:9], v26, s27, v[2:3]
	v_cmp_lt_u32_e64 s[8:9], 31, v24
	v_cndmask_b32_e64 v2, 0, v8, s[8:9]
	v_add_u32_e32 v24, v2, v24
	v_mov_b32_e32 v2, v35
	v_mad_u64_u32 v[35:36], s[10:11], v26, s28, v[2:3]
	v_cndmask_b32_e32 v2, v33, v31, vcc
	v_cndmask_b32_e32 v26, v34, v32, vcc
	v_cndmask_b32_e32 v33, v35, v33, vcc
	v_cndmask_b32_e32 v34, v36, v34, vcc
	v_cndmask_b32_e64 v28, v26, v2, s[6:7]
	v_cndmask_b32_e64 v26, v33, v26, s[6:7]
	;; [unrolled: 1-line block ×3, first 2 shown]
	v_sub_u32_e32 v34, 32, v24
	v_cmp_eq_u32_e64 s[10:11], 0, v24
	v_cndmask_b32_e32 v24, v32, v30, vcc
	v_cndmask_b32_e64 v33, v33, v26, s[8:9]
	v_cndmask_b32_e64 v26, v26, v28, s[8:9]
	;; [unrolled: 1-line block ×3, first 2 shown]
	v_alignbit_b32 v35, v33, v26, v34
	v_cndmask_b32_e64 v28, v28, v2, s[8:9]
	v_cndmask_b32_e64 v33, v35, v33, s[10:11]
	v_alignbit_b32 v30, v26, v28, v34
	v_cndmask_b32_e32 v29, v31, v29, vcc
	v_cndmask_b32_e64 v26, v30, v26, s[10:11]
	v_bfe_u32 v35, v33, 29, 1
	v_cndmask_b32_e64 v24, v24, v29, s[6:7]
	v_alignbit_b32 v30, v33, v26, 30
	v_sub_u32_e32 v36, 0, v35
	v_cndmask_b32_e64 v2, v2, v24, s[8:9]
	v_xor_b32_e32 v30, v30, v36
	v_alignbit_b32 v24, v28, v2, v34
	v_cndmask_b32_e64 v24, v24, v28, s[10:11]
	v_ffbh_u32_e32 v28, v30
	v_alignbit_b32 v26, v26, v24, 30
	v_min_u32_e32 v28, 32, v28
	v_alignbit_b32 v2, v24, v2, 30
	v_xor_b32_e32 v26, v26, v36
	v_sub_u32_e32 v29, 31, v28
	v_xor_b32_e32 v2, v2, v36
	v_alignbit_b32 v30, v30, v26, v29
	v_alignbit_b32 v2, v26, v2, v29
	v_alignbit_b32 v24, v30, v2, 9
	v_ffbh_u32_e32 v26, v24
	v_min_u32_e32 v26, 32, v26
	v_lshrrev_b32_e32 v32, 29, v33
	v_not_b32_e32 v29, v26
	v_alignbit_b32 v2, v24, v2, v29
	v_lshlrev_b32_e32 v24, 31, v32
	v_or_b32_e32 v29, 0x33000000, v24
	v_add_lshl_u32 v26, v26, v28, 23
	v_lshrrev_b32_e32 v2, 9, v2
	v_sub_u32_e32 v26, v29, v26
	v_or_b32_e32 v24, 0.5, v24
	v_lshlrev_b32_e32 v28, 23, v28
	v_or_b32_e32 v2, v26, v2
	v_lshrrev_b32_e32 v26, 9, v30
	v_sub_u32_e32 v24, v24, v28
	v_or_b32_e32 v24, v26, v24
	v_mul_f32_e32 v26, 0x3fc90fda, v24
	v_fma_f32 v28, v24, s29, -v26
	v_fmac_f32_e32 v28, 0x33a22168, v24
	v_fmac_f32_e32 v28, 0x3fc90fda, v2
	v_lshrrev_b32_e32 v2, 30, v33
	v_add_f32_e32 v24, v26, v28
	v_add_u32_e32 v2, v35, v2
                                        ; implicit-def: $vgpr29
	s_andn2_saveexec_b64 s[6:7], s[12:13]
	s_cbranch_execz .LBB6_1
	s_branch .LBB6_25
.LBB6_24:                               ;   in Loop: Header=BB6_2 Depth=1
	s_andn2_saveexec_b64 s[6:7], s[12:13]
	s_cbranch_execz .LBB6_1
.LBB6_25:                               ;   in Loop: Header=BB6_2 Depth=1
	v_cvt_i32_f32_e32 v2, v29
	v_fma_f32 v24, v29, s33, |v22|
	v_fmac_f32_e32 v24, 0xb3a22168, v29
	v_fmac_f32_e32 v24, 0xa7c234c4, v29
	s_branch .LBB6_1
.LBB6_26:
	s_load_dwordx2 s[6:7], s[4:5], 0x0
	s_load_dwordx4 s[20:23], s[4:5], 0x48
	buffer_load_dword v0, off, s[0:3], 0 offset:272
	s_mov_b32 s4, 0x41c00
	s_mov_b32 s25, 0
	s_waitcnt lgkmcnt(0)
	s_max_i32 s31, s7, 1
	s_max_i32 s33, s6, 1
	s_add_u32 s18, s36, 8
	s_addc_u32 s19, s37, 0
	s_movk_i32 s34, 0x46
	s_movk_i32 s35, 0x45
	s_mov_b32 s36, 0xf800000
	s_mov_b32 s24, s25
	v_mov_b32_e32 v51, 0
	v_mov_b32_e32 v36, 0x42980000
	s_waitcnt vmcnt(0)
	buffer_store_dword v0, off, s[0:3], s4  ; 4-byte Folded Spill
	buffer_load_dword v0, off, s[0:3], 0 offset:276
	s_mov_b32 s4, 0x41d00
	s_waitcnt vmcnt(0)
	buffer_store_dword v0, off, s[0:3], s4  ; 4-byte Folded Spill
	buffer_load_dword v0, off, s[0:3], 0 offset:280
	s_mov_b32 s4, 0x41e00
	;; [unrolled: 4-line block ×299, first 2 shown]
	s_waitcnt vmcnt(0)
	buffer_store_dword v0, off, s[0:3], s4  ; 4-byte Folded Spill
.LBB6_27:                               ; =>This Loop Header: Depth=1
                                        ;     Child Loop BB6_28 Depth 2
	s_lshl_b64 s[4:5], s[24:25], 4
	s_add_u32 s4, s38, s4
	s_addc_u32 s5, s39, s5
	buffer_load_dword v8, off, s[0:3], 0 offset:1472
	buffer_load_dword v6, off, s[0:3], 0 offset:1476
	;; [unrolled: 1-line block ×8, first 2 shown]
	global_load_dwordx4 v[0:3], v51, s[4:5]
	s_mov_b32 s4, 0x41c00
	s_mov_b32 s37, s31
	s_mov_b64 s[26:27], s[18:19]
	s_waitcnt vmcnt(0)
	v_fmac_f32_e32 v30, v0, v8
	v_fmac_f32_e32 v31, v0, v9
	buffer_load_dword v12, off, s[0:3], 0 offset:1504
	buffer_load_dword v32, off, s[0:3], 0 offset:1516
	;; [unrolled: 1-line block ×8, first 2 shown]
	v_fmac_f32_e32 v30, v1, v6
	v_fmac_f32_e32 v31, v1, v7
	;; [unrolled: 1-line block ×4, first 2 shown]
	s_waitcnt vmcnt(6)
	v_fmac_f32_e32 v32, v0, v12
	s_waitcnt vmcnt(4)
	v_fmac_f32_e32 v33, v0, v14
	buffer_load_dword v34, off, s[0:3], 0 offset:1548
	buffer_load_dword v14, off, s[0:3], 0 offset:1536
	;; [unrolled: 1-line block ×8, first 2 shown]
	s_waitcnt vmcnt(9)
	v_fmac_f32_e32 v32, v1, v11
	v_fmac_f32_e32 v33, v1, v10
	s_waitcnt vmcnt(8)
	v_fmac_f32_e32 v32, v2, v9
	v_fmac_f32_e32 v33, v2, v8
	s_waitcnt vmcnt(6)
	v_fmac_f32_e32 v34, v0, v14
	s_waitcnt vmcnt(2)
	;; [unrolled: 2-line block ×4, first 2 shown]
	v_fmac_f32_e32 v37, v0, v13
	buffer_load_dword v38, off, s[0:3], 0 offset:1580
	buffer_load_dword v14, off, s[0:3], 0 offset:1568
	;; [unrolled: 1-line block ×8, first 2 shown]
	v_fmac_f32_e32 v37, v1, v16
	v_fmac_f32_e32 v37, v2, v12
	s_waitcnt vmcnt(6)
	v_fmac_f32_e32 v38, v0, v14
	s_waitcnt vmcnt(2)
	v_fmac_f32_e32 v38, v1, v19
	s_waitcnt vmcnt(1)
	v_fmac_f32_e32 v38, v2, v20
	s_waitcnt vmcnt(0)
	v_fmac_f32_e32 v39, v0, v13
	buffer_load_dword v40, off, s[0:3], 0 offset:1612
	buffer_load_dword v14, off, s[0:3], 0 offset:1600
	;; [unrolled: 1-line block ×8, first 2 shown]
	v_fmac_f32_e32 v39, v1, v35
	v_fmac_f32_e32 v39, v2, v18
	s_waitcnt vmcnt(6)
	v_fmac_f32_e32 v40, v0, v14
	s_waitcnt vmcnt(2)
	;; [unrolled: 2-line block ×4, first 2 shown]
	v_fmac_f32_e32 v41, v0, v13
	buffer_load_dword v42, off, s[0:3], 0 offset:1644
	buffer_load_dword v14, off, s[0:3], 0 offset:1632
	buffer_load_dword v13, off, s[0:3], 0 offset:1648
	buffer_load_dword v26, off, s[0:3], 0 offset:1636
	buffer_load_dword v27, off, s[0:3], 0 offset:1652
	buffer_load_dword v28, off, s[0:3], 0 offset:1656
	buffer_load_dword v29, off, s[0:3], 0 offset:1640
	v_fmac_f32_e32 v41, v1, v21
	v_fmac_f32_e32 v41, v2, v23
	buffer_store_dword v30, off, s[0:3], 0 offset:3416 ; 4-byte Folded Spill
	buffer_store_dword v31, off, s[0:3], 0 offset:3420 ; 4-byte Folded Spill
	;; [unrolled: 1-line block ×10, first 2 shown]
	s_waitcnt vmcnt(15)
	v_fmac_f32_e32 v42, v0, v14
	buffer_load_dword v14, off, s[0:3], 0 offset:1660
	s_waitcnt vmcnt(14)
	v_fmac_f32_e32 v42, v1, v26
	s_waitcnt vmcnt(11)
	v_fmac_f32_e32 v42, v2, v29
	buffer_store_dword v42, off, s[0:3], 0 offset:3456 ; 4-byte Folded Spill
	s_waitcnt vmcnt(1)
	v_fmac_f32_e32 v14, v0, v13
	v_fmac_f32_e32 v14, v1, v27
	;; [unrolled: 1-line block ×3, first 2 shown]
	buffer_store_dword v14, off, s[0:3], 0 offset:3460 ; 4-byte Folded Spill
	buffer_load_dword v10, off, s[0:3], 0 offset:1676
	buffer_load_dword v4, off, s[0:3], 0 offset:1664
	;; [unrolled: 1-line block ×8, first 2 shown]
	s_waitcnt vmcnt(6)
	v_fmac_f32_e32 v10, v0, v4
	s_waitcnt vmcnt(5)
	v_fmac_f32_e32 v10, v1, v5
	s_waitcnt vmcnt(1)
	v_fmac_f32_e32 v11, v0, v6
	v_fmac_f32_e32 v11, v1, v7
	s_waitcnt vmcnt(0)
	v_fmac_f32_e32 v10, v2, v9
	v_fmac_f32_e32 v11, v2, v8
	buffer_store_dword v10, off, s[0:3], 0 offset:3464 ; 4-byte Folded Spill
	buffer_store_dword v11, off, s[0:3], 0 offset:3468 ; 4-byte Folded Spill
	buffer_load_dword v10, off, s[0:3], 0 offset:1708
	s_nop 0
	buffer_load_dword v4, off, s[0:3], 0 offset:1696
	buffer_load_dword v5, off, s[0:3], 0 offset:1700
	buffer_load_dword v6, off, s[0:3], 0 offset:1712
	buffer_load_dword v7, off, s[0:3], 0 offset:1716
	buffer_load_dword v8, off, s[0:3], 0 offset:1720
	buffer_load_dword v11, off, s[0:3], 0 offset:1724
	buffer_load_dword v9, off, s[0:3], 0 offset:1704
	s_waitcnt vmcnt(6)
	v_fmac_f32_e32 v10, v0, v4
	s_waitcnt vmcnt(5)
	v_fmac_f32_e32 v10, v1, v5
	s_waitcnt vmcnt(1)
	v_fmac_f32_e32 v11, v0, v6
	v_fmac_f32_e32 v11, v1, v7
	s_waitcnt vmcnt(0)
	v_fmac_f32_e32 v10, v2, v9
	v_fmac_f32_e32 v11, v2, v8
	buffer_store_dword v10, off, s[0:3], 0 offset:3472 ; 4-byte Folded Spill
	buffer_store_dword v11, off, s[0:3], 0 offset:3476 ; 4-byte Folded Spill
	buffer_load_dword v10, off, s[0:3], 0 offset:1740
	s_nop 0
	buffer_load_dword v4, off, s[0:3], 0 offset:1728
	buffer_load_dword v5, off, s[0:3], 0 offset:1732
	buffer_load_dword v6, off, s[0:3], 0 offset:1744
	buffer_load_dword v7, off, s[0:3], 0 offset:1748
	buffer_load_dword v8, off, s[0:3], 0 offset:1752
	buffer_load_dword v11, off, s[0:3], 0 offset:1756
	buffer_load_dword v9, off, s[0:3], 0 offset:1736
	;; [unrolled: 21-line block ×51, first 2 shown]
	s_waitcnt vmcnt(6)
	v_fmac_f32_e32 v10, v0, v4
	s_waitcnt vmcnt(5)
	v_fmac_f32_e32 v10, v1, v5
	s_waitcnt vmcnt(1)
	v_fmac_f32_e32 v11, v0, v6
	v_fmac_f32_e32 v11, v1, v7
	s_waitcnt vmcnt(0)
	v_fmac_f32_e32 v10, v2, v9
	v_fmac_f32_e32 v11, v2, v8
	buffer_store_dword v10, off, s[0:3], 0 offset:3872 ; 4-byte Folded Spill
	buffer_store_dword v11, off, s[0:3], 0 offset:3876 ; 4-byte Folded Spill
	buffer_load_dword v7, off, s[0:3], 0 offset:3340
	buffer_load_dword v4, off, s[0:3], 0 offset:3328
	;; [unrolled: 1-line block ×4, first 2 shown]
	s_waitcnt vmcnt(2)
	v_fmac_f32_e32 v7, v0, v4
	s_waitcnt vmcnt(1)
	v_fmac_f32_e32 v7, v1, v5
	buffer_load_dword v5, off, s[0:3], s4   ; 4-byte Folded Reload
	s_mov_b32 s4, 0x41f00
	s_waitcnt vmcnt(1)
	v_fmac_f32_e32 v7, v2, v6
	buffer_load_dword v6, off, s[0:3], s4   ; 4-byte Folded Reload
	s_mov_b32 s4, 0x41d00
	v_ashrrev_i32_e32 v4, 31, v3
	buffer_store_dword v7, off, s[0:3], 0 offset:3880 ; 4-byte Folded Spill
	s_waitcnt vmcnt(1)
	v_fma_f32 v6, v0, v5, v6
	buffer_load_dword v5, off, s[0:3], s4   ; 4-byte Folded Reload
	s_mov_b32 s4, 0x41e00
	s_waitcnt vmcnt(0)
	v_fmac_f32_e32 v6, v1, v5
	buffer_load_dword v5, off, s[0:3], s4   ; 4-byte Folded Reload
	s_mov_b32 s4, 0x42000
	s_waitcnt vmcnt(0)
	v_fmac_f32_e32 v6, v2, v5
	buffer_load_dword v5, off, s[0:3], s4   ; 4-byte Folded Reload
	s_mov_b32 s4, 0x42300
	buffer_store_dword v6, off, s[0:3], 0 offset:3884 ; 4-byte Folded Spill
	buffer_load_dword v6, off, s[0:3], s4   ; 4-byte Folded Reload
	s_mov_b32 s4, 0x42100
	s_waitcnt vmcnt(0)
	v_fma_f32 v6, v0, v5, v6
	buffer_load_dword v5, off, s[0:3], s4   ; 4-byte Folded Reload
	s_mov_b32 s4, 0x42200
	s_waitcnt vmcnt(0)
	v_fmac_f32_e32 v6, v1, v5
	buffer_load_dword v5, off, s[0:3], s4   ; 4-byte Folded Reload
	s_mov_b32 s4, 0x42400
	s_waitcnt vmcnt(0)
	v_fmac_f32_e32 v6, v2, v5
	buffer_load_dword v5, off, s[0:3], s4   ; 4-byte Folded Reload
	s_mov_b32 s4, 0x42700
	buffer_store_dword v6, off, s[0:3], 0 offset:3888 ; 4-byte Folded Spill
	buffer_load_dword v6, off, s[0:3], s4   ; 4-byte Folded Reload
	s_mov_b32 s4, 0x42500
	;; [unrolled: 15-line block ×53, first 2 shown]
	s_waitcnt vmcnt(0)
	v_fma_f32 v6, v0, v6, v5
	buffer_load_dword v5, off, s[0:3], s4   ; 4-byte Folded Reload
	s_mov_b32 s4, 0x4f200
	s_waitcnt vmcnt(0)
	v_fmac_f32_e32 v6, v1, v5
	buffer_load_dword v5, off, s[0:3], s4   ; 4-byte Folded Reload
	s_mov_b32 s4, 0x40000
	s_waitcnt vmcnt(0)
	v_fmac_f32_e32 v6, v2, v5
	buffer_store_dword v6, off, s[0:3], s4  ; 4-byte Folded Spill
	s_mov_b32 s4, 0x4f400
	buffer_load_dword v5, off, s[0:3], s4   ; 4-byte Folded Reload
	s_mov_b32 s4, 0x4f500
	buffer_load_dword v6, off, s[0:3], s4   ; 4-byte Folded Reload
	s_mov_b32 s4, 0x4f600
	s_waitcnt vmcnt(0)
	v_fma_f32 v6, v0, v6, v5
	buffer_load_dword v5, off, s[0:3], s4   ; 4-byte Folded Reload
	s_mov_b32 s4, 0x4fb00
	s_waitcnt vmcnt(0)
	v_fmac_f32_e32 v6, v1, v5
	buffer_load_dword v5, off, s[0:3], s4   ; 4-byte Folded Reload
	s_mov_b32 s4, 0x40100
	s_waitcnt vmcnt(0)
	v_fmac_f32_e32 v6, v2, v5
	buffer_store_dword v6, off, s[0:3], s4  ; 4-byte Folded Spill
	s_mov_b32 s4, 0x4f700
	buffer_load_dword v5, off, s[0:3], s4   ; 4-byte Folded Reload
	s_mov_b32 s4, 0x4f800
	buffer_load_dword v6, off, s[0:3], s4   ; 4-byte Folded Reload
	s_mov_b32 s4, 0x4f900
	;; [unrolled: 16-line block ×21, first 2 shown]
	s_waitcnt vmcnt(0)
	v_fma_f32 v5, v0, v6, v5
	buffer_load_dword v0, off, s[0:3], s4   ; 4-byte Folded Reload
	s_mov_b32 s4, 0x54700
	s_waitcnt vmcnt(0)
	v_fmac_f32_e32 v5, v1, v0
	buffer_load_dword v0, off, s[0:3], s4   ; 4-byte Folded Reload
	s_mov_b32 s4, 0x41500
	s_waitcnt vmcnt(0)
	v_fmac_f32_e32 v5, v2, v0
	v_lshlrev_b64 v[0:1], 4, v[3:4]
	v_mov_b32_e32 v2, s23
	v_add_co_u32_e32 v0, vcc, s22, v0
	v_addc_co_u32_e32 v1, vcc, v2, v1, vcc
	buffer_store_dword v5, off, s[0:3], s4  ; 4-byte Folded Spill
	global_load_dwordx4 v[2:5], v[0:1], off
	v_mov_b32_e32 v0, 0x40b00000
	s_mov_b32 s4, 0x41600
	s_waitcnt vmcnt(0)
	v_cmp_eq_u32_e64 s[8:9], s34, v2
	v_cmp_eq_u32_e64 s[10:11], s35, v2
	v_mov_b32_e32 v1, v3
	v_mov_b32_e32 v2, v4
	;; [unrolled: 1-line block ×3, first 2 shown]
	buffer_store_dword v0, off, s[0:3], s4  ; 4-byte Folded Spill
	s_nop 0
	buffer_store_dword v1, off, s[0:3], s4 offset:4 ; 4-byte Folded Spill
	buffer_store_dword v2, off, s[0:3], s4 offset:8 ; 4-byte Folded Spill
	;; [unrolled: 1-line block ×3, first 2 shown]
	v_cmp_gt_f32_e64 s[12:13], 0, v4
	s_mov_b32 s4, 0x41a00
	v_cmp_lt_f32_e64 s[6:7], 0, v4
	v_cndmask_b32_e64 v0, 1.0, v0, s[12:13]
	buffer_store_dword v0, off, s[0:3], s4  ; 4-byte Folded Spill
	v_mov_b32_e32 v0, 0xff7fffff
	v_cndmask_b32_e64 v0, v0, 1.0, s[12:13]
	s_mov_b32 s4, 0x41b00
	buffer_store_dword v0, off, s[0:3], s4  ; 4-byte Folded Spill
	buffer_load_dword v28, off, s[0:3], 0 offset:16
	buffer_load_dword v26, off, s[0:3], 0 offset:20
	;; [unrolled: 1-line block ×22, first 2 shown]
	s_waitcnt vmcnt(0)
	buffer_store_dword v0, off, s[0:3], 0 offset:3412 ; 4-byte Folded Spill
	buffer_load_dword v0, off, s[0:3], 0 offset:104
	s_waitcnt vmcnt(0)
	buffer_store_dword v0, off, s[0:3], 0 offset:3408 ; 4-byte Folded Spill
	buffer_load_dword v0, off, s[0:3], 0 offset:108
	;; [unrolled: 3-line block ×18, first 2 shown]
	buffer_load_dword v46, off, s[0:3], 0 offset:176
	buffer_load_dword v47, off, s[0:3], 0 offset:180
	buffer_load_dword v44, off, s[0:3], 0 offset:184
	buffer_load_dword v43, off, s[0:3], 0 offset:188
	buffer_load_dword v50, off, s[0:3], 0 offset:192
	buffer_load_dword v48, off, s[0:3], 0 offset:196
	buffer_load_dword v41, off, s[0:3], 0 offset:200
	buffer_load_dword v3, off, s[0:3], 0 offset:204
	buffer_load_dword v2, off, s[0:3], 0 offset:208
	buffer_load_dword v1, off, s[0:3], 0 offset:212
	buffer_load_dword v0, off, s[0:3], 0 offset:216
	buffer_load_dword v45, off, s[0:3], 0 offset:220
	buffer_load_dword v42, off, s[0:3], 0 offset:224
	buffer_load_dword v40, off, s[0:3], 0 offset:228
	buffer_load_dword v39, off, s[0:3], 0 offset:232
	buffer_load_dword v38, off, s[0:3], 0 offset:236
	buffer_load_dword v37, off, s[0:3], 0 offset:240
	buffer_load_dword v34, off, s[0:3], 0 offset:244
	buffer_load_dword v33, off, s[0:3], 0 offset:248
	buffer_load_dword v32, off, s[0:3], 0 offset:252
	buffer_load_dword v31, off, s[0:3], 0 offset:256
	buffer_load_dword v27, off, s[0:3], 0 offset:260
	buffer_load_dword v30, off, s[0:3], 0 offset:264
	buffer_load_dword v9, off, s[0:3], 0 offset:268
.LBB6_28:                               ;   Parent Loop BB6_27 Depth=1
                                        ; =>  This Inner Loop Header: Depth=2
	global_load_dwordx4 v[4:7], v51, s[26:27] offset:-8
	s_mov_b32 s4, 0x41600
	v_mov_b32_e32 v15, v14
	v_mov_b32_e32 v14, v13
	v_mov_b32_e32 v13, v22
	v_mov_b32_e32 v22, v21
	v_mov_b32_e32 v21, v20
	v_mov_b32_e32 v20, v19
	v_mov_b32_e32 v19, v18
	v_mov_b32_e32 v18, v35
	v_mov_b32_e32 v35, v16
	v_mov_b32_e32 v16, v17
	s_waitcnt vmcnt(25)
	v_mov_b32_e32 v17, v49
	s_waitcnt vmcnt(23)
	v_mov_b32_e32 v49, v47
	s_waitcnt vmcnt(22)
	v_mov_b32_e32 v47, v44
	s_waitcnt vmcnt(21)
	v_mov_b32_e32 v44, v43
	s_waitcnt vmcnt(20)
	v_mov_b32_e32 v43, v50
	s_waitcnt vmcnt(19)
	v_mov_b32_e32 v50, v48
	s_waitcnt vmcnt(18)
	v_mov_b32_e32 v48, v41
	s_waitcnt vmcnt(17)
	v_mov_b32_e32 v41, v3
	s_waitcnt vmcnt(16)
	v_mov_b32_e32 v3, v2
	s_waitcnt vmcnt(15)
	v_mov_b32_e32 v2, v1
	s_waitcnt vmcnt(14)
	v_mov_b32_e32 v1, v0
	v_mov_b32_e32 v0, v46
	s_waitcnt vmcnt(13)
	v_mov_b32_e32 v46, v45
	s_waitcnt vmcnt(12)
	;; [unrolled: 2-line block ×13, first 2 shown]
	v_ashrrev_i32_e32 v52, 31, v7
	v_mov_b32_e32 v51, v7
	v_lshlrev_b64 v[51:52], 4, v[51:52]
	v_mov_b32_e32 v7, s23
	v_add_co_u32_e32 v51, vcc, s22, v51
	v_addc_co_u32_e32 v52, vcc, v7, v52, vcc
	global_load_dwordx4 v[51:54], v[51:52], off
	s_nop 0
	buffer_load_dword v55, off, s[0:3], s4  ; 4-byte Folded Reload
	buffer_load_dword v56, off, s[0:3], s4 offset:4 ; 4-byte Folded Reload
	buffer_load_dword v57, off, s[0:3], s4 offset:8 ; 4-byte Folded Reload
	;; [unrolled: 1-line block ×3, first 2 shown]
	v_mov_b32_e32 v7, v28
	s_waitcnt vmcnt(4)
	v_cmp_neq_f32_e64 s[14:15], 0, v53
	s_waitcnt vmcnt(0)
	v_mov_b32_e32 v28, v56
	v_add_f32_e32 v55, v28, v52
	v_mov_b32_e32 v28, v7
	v_div_scale_f32 v7, s[4:5], v55, v55, 1.0
	v_mov_b32_e32 v29, v57
	v_mov_b32_e32 v30, v58
	v_cmp_lt_f32_e64 s[4:5], 0, v53
	s_and_b64 s[4:5], s[4:5], s[12:13]
	v_mul_f32_e32 v54, v30, v54
	v_mov_b32_e32 v30, v27
	v_mov_b32_e32 v27, v31
	;; [unrolled: 1-line block ×9, first 2 shown]
	v_rcp_f32_e32 v52, v7
	v_mov_b32_e32 v40, v42
	v_mov_b32_e32 v42, v45
	;; [unrolled: 1-line block ×3, first 2 shown]
	v_fma_f32 v56, -v7, v52, 1.0
	v_fmac_f32_e32 v52, v56, v52
	v_div_scale_f32 v56, vcc, 1.0, v55, 1.0
	v_mov_b32_e32 v46, v0
	v_mov_b32_e32 v0, v1
	;; [unrolled: 1-line block ×14, first 2 shown]
	v_mul_f32_e32 v57, v56, v52
	v_fma_f32 v58, -v7, v57, v56
	v_fmac_f32_e32 v57, v58, v52
	v_fma_f32 v7, -v7, v57, v56
	v_div_fmas_f32 v7, v7, v52, v57
	v_cmp_eq_u32_e32 vcc, s34, v51
	s_and_b64 vcc, vcc, s[8:9]
	v_cndmask_b32_e64 v58, v29, -v29, s[4:5]
	s_mov_b32 s4, 0x41a00
	v_cndmask_b32_e64 v52, 2.0, 4.0, vcc
	v_mov_b32_e32 v35, v18
	v_mov_b32_e32 v18, v19
	;; [unrolled: 1-line block ×9, first 2 shown]
	v_div_fixup_f32 v57, v7, v55, 1.0
	v_mov_b32_e32 v7, 0x3e800000
	v_cndmask_b32_e32 v56, 0.5, v7, vcc
	buffer_load_dword v7, off, s[0:3], s4   ; 4-byte Folded Reload
	s_mov_b32 s4, 0x41b00
	buffer_load_dword v29, off, s[0:3], s4  ; 4-byte Folded Reload
	v_cmp_eq_u32_e32 vcc, s35, v51
	s_or_b64 s[28:29], vcc, s[10:11]
	v_cmp_gt_f32_e32 vcc, 0, v53
	s_and_b64 s[40:41], vcc, s[6:7]
	v_cndmask_b32_e64 v51, v53, -v53, s[40:41]
	v_add_f32_e32 v51, v51, v58
	s_waitcnt vmcnt(0)
	v_cndmask_b32_e32 v7, v29, v7, vcc
	v_div_scale_f32 v53, s[4:5], v7, v7, 1.0
	v_mov_b32_e32 v29, v9
	v_mov_b32_e32 v9, v63
	;; [unrolled: 1-line block ×3, first 2 shown]
	v_rcp_f32_e32 v59, v53
	v_fma_f32 v60, -v53, v59, 1.0
	v_fmac_f32_e32 v59, v60, v59
	v_div_scale_f32 v60, vcc, 1.0, v7, 1.0
	v_mul_f32_e32 v61, v60, v59
	v_fma_f32 v62, -v53, v61, v60
	v_fmac_f32_e32 v61, v62, v59
	v_mov_b32_e32 v62, v63
	v_mov_b32_e32 v63, v9
	buffer_load_dword v9, off, s[0:3], 0 offset:3884 ; 4-byte Folded Reload
	v_fma_f32 v53, -v53, v61, v60
	v_div_fmas_f32 v53, v53, v59, v61
	v_div_fixup_f32 v53, v53, v7, 1.0
	s_waitcnt vmcnt(0)
	v_sub_f32_e32 v58, v9, v4
	buffer_load_dword v9, off, s[0:3], 0 offset:3888 ; 4-byte Folded Reload
	s_waitcnt vmcnt(0)
	v_sub_f32_e32 v59, v9, v5
	buffer_load_dword v9, off, s[0:3], 0 offset:3892 ; 4-byte Folded Reload
	v_mul_f32_e32 v59, v59, v59
	v_fmac_f32_e32 v59, v58, v58
	s_waitcnt vmcnt(0)
	v_sub_f32_e32 v60, v9, v6
	buffer_load_dword v9, off, s[0:3], 0 offset:3896 ; 4-byte Folded Reload
	v_fmac_f32_e32 v59, v60, v60
	v_cmp_gt_f32_e32 vcc, s36, v59
	v_mul_f32_e32 v58, 0x4f800000, v59
	v_cndmask_b32_e32 v58, v59, v58, vcc
	v_sqrt_f32_e32 v59, v58
	v_add_u32_e32 v60, -1, v59
	v_fma_f32 v61, -v60, v59, v58
	v_cmp_ge_f32_e64 s[4:5], 0, v61
	v_add_u32_e32 v61, 1, v59
	v_cndmask_b32_e64 v60, v59, v60, s[4:5]
	v_fma_f32 v59, -v61, v59, v58
	v_cmp_lt_f32_e64 s[4:5], 0, v59
	v_cndmask_b32_e64 v59, v60, v61, s[4:5]
	v_mul_f32_e32 v60, 0x37800000, v59
	v_cndmask_b32_e32 v59, v59, v60, vcc
	v_cmp_class_f32_e32 vcc, v58, v15
	v_cndmask_b32_e32 v58, v59, v58, vcc
	v_sub_f32_e32 v59, v58, v55
	v_cmp_gt_f32_e32 vcc, 0, v59
	v_fma_f32 v58, -v57, v58, 1.0
	v_cndmask_b32_e32 v60, 0, v36, vcc
	v_fmac_f32_e32 v28, v58, v60
	v_fma_f32 v58, -v56, v59, 1.0
	v_cmp_lt_f32_e64 s[4:5], v59, v52
	v_cndmask_b32_e64 v58, v58, 1.0, vcc
	v_cndmask_b32_e64 v60, 0, 1.0, s[4:5]
	v_mul_f32_e32 v58, v60, v58
	v_mul_f32_e32 v58, v54, v58
	v_cmp_lt_f32_e64 s[4:5], v59, v7
	v_cndmask_b32_e64 v58, v58, -|v58|, s[28:29]
	s_and_b64 s[4:5], s[14:15], s[4:5]
	v_fmac_f32_e32 v28, 0x42340000, v58
	v_fma_f32 v58, -v53, v59, 1.0
	v_cndmask_b32_e64 v59, 0, 1.0, s[4:5]
	v_mul_f32_e32 v59, v51, v59
	v_cndmask_b32_e64 v58, v58, 1.0, vcc
	v_fmac_f32_e32 v28, v58, v59
	s_waitcnt vmcnt(0)
	v_sub_f32_e32 v58, v9, v4
	buffer_load_dword v9, off, s[0:3], 0 offset:3900 ; 4-byte Folded Reload
	s_waitcnt vmcnt(0)
	v_sub_f32_e32 v59, v9, v5
	buffer_load_dword v9, off, s[0:3], 0 offset:3904 ; 4-byte Folded Reload
	v_mul_f32_e32 v59, v59, v59
	v_fmac_f32_e32 v59, v58, v58
	s_waitcnt vmcnt(0)
	v_sub_f32_e32 v60, v9, v6
	buffer_load_dword v9, off, s[0:3], 0 offset:3908 ; 4-byte Folded Reload
	v_fmac_f32_e32 v59, v60, v60
	v_cmp_gt_f32_e32 vcc, s36, v59
	v_mul_f32_e32 v58, 0x4f800000, v59
	v_cndmask_b32_e32 v58, v59, v58, vcc
	v_sqrt_f32_e32 v59, v58
	v_add_u32_e32 v60, -1, v59
	v_fma_f32 v61, -v60, v59, v58
	v_cmp_ge_f32_e64 s[4:5], 0, v61
	v_add_u32_e32 v61, 1, v59
	v_cndmask_b32_e64 v60, v59, v60, s[4:5]
	v_fma_f32 v59, -v61, v59, v58
	v_cmp_lt_f32_e64 s[4:5], 0, v59
	v_cndmask_b32_e64 v59, v60, v61, s[4:5]
	v_mul_f32_e32 v60, 0x37800000, v59
	v_cndmask_b32_e32 v59, v59, v60, vcc
	v_cmp_class_f32_e32 vcc, v58, v15
	v_cndmask_b32_e32 v58, v59, v58, vcc
	v_sub_f32_e32 v59, v58, v55
	v_cmp_gt_f32_e32 vcc, 0, v59
	v_fma_f32 v58, -v57, v58, 1.0
	v_cndmask_b32_e32 v60, 0, v36, vcc
	v_fmac_f32_e32 v26, v58, v60
	v_fma_f32 v58, -v56, v59, 1.0
	v_cmp_lt_f32_e64 s[4:5], v59, v52
	v_cndmask_b32_e64 v58, v58, 1.0, vcc
	v_cndmask_b32_e64 v60, 0, 1.0, s[4:5]
	v_mul_f32_e32 v58, v60, v58
	v_mul_f32_e32 v58, v54, v58
	v_cmp_lt_f32_e64 s[4:5], v59, v7
	v_cndmask_b32_e64 v58, v58, -|v58|, s[28:29]
	s_and_b64 s[4:5], s[14:15], s[4:5]
	v_fmac_f32_e32 v26, 0x42340000, v58
	v_fma_f32 v58, -v53, v59, 1.0
	v_cndmask_b32_e64 v59, 0, 1.0, s[4:5]
	v_mul_f32_e32 v59, v51, v59
	v_cndmask_b32_e64 v58, v58, 1.0, vcc
	v_fmac_f32_e32 v26, v58, v59
	;; [unrolled: 48-line block ×17, first 2 shown]
	s_mov_b32 s4, 0x40000
	s_waitcnt vmcnt(0)
	v_sub_f32_e32 v58, v9, v4
	buffer_load_dword v9, off, s[0:3], 0 offset:4092 ; 4-byte Folded Reload
	s_waitcnt vmcnt(0)
	v_sub_f32_e32 v59, v9, v5
	buffer_load_dword v9, off, s[0:3], s4   ; 4-byte Folded Reload
	v_mul_f32_e32 v59, v59, v59
	v_fmac_f32_e32 v59, v58, v58
	s_waitcnt vmcnt(0)
	v_sub_f32_e32 v60, v9, v6
	v_fmac_f32_e32 v59, v60, v60
	v_cmp_gt_f32_e32 vcc, s36, v59
	v_mul_f32_e32 v58, 0x4f800000, v59
	v_cndmask_b32_e32 v58, v59, v58, vcc
	v_sqrt_f32_e32 v59, v58
	v_add_u32_e32 v60, -1, v59
	v_fma_f32 v61, -v60, v59, v58
	v_cmp_ge_f32_e64 s[4:5], 0, v61
	v_add_u32_e32 v61, 1, v59
	v_cndmask_b32_e64 v60, v59, v60, s[4:5]
	v_fma_f32 v59, -v61, v59, v58
	v_cmp_lt_f32_e64 s[4:5], 0, v59
	v_cndmask_b32_e64 v59, v60, v61, s[4:5]
	v_mul_f32_e32 v60, 0x37800000, v59
	v_cndmask_b32_e32 v59, v59, v60, vcc
	v_cmp_class_f32_e32 vcc, v58, v15
	v_cndmask_b32_e32 v58, v59, v58, vcc
	v_sub_f32_e32 v59, v58, v55
	v_cmp_gt_f32_e32 vcc, 0, v59
	v_fma_f32 v58, -v57, v58, 1.0
	v_cndmask_b32_e32 v60, 0, v36, vcc
	v_fmac_f32_e32 v11, v58, v60
	v_fma_f32 v58, -v56, v59, 1.0
	v_cmp_lt_f32_e64 s[4:5], v59, v52
	v_cndmask_b32_e64 v58, v58, 1.0, vcc
	v_cndmask_b32_e64 v60, 0, 1.0, s[4:5]
	v_mul_f32_e32 v58, v60, v58
	v_mul_f32_e32 v58, v54, v58
	v_cmp_lt_f32_e64 s[4:5], v59, v7
	v_cndmask_b32_e64 v58, v58, -|v58|, s[28:29]
	s_and_b64 s[4:5], s[14:15], s[4:5]
	v_fmac_f32_e32 v11, 0x42340000, v58
	v_fma_f32 v58, -v53, v59, 1.0
	v_cndmask_b32_e64 v59, 0, 1.0, s[4:5]
	s_mov_b32 s4, 0x40100
	buffer_load_dword v9, off, s[0:3], s4   ; 4-byte Folded Reload
	v_mul_f32_e32 v59, v51, v59
	v_cndmask_b32_e64 v58, v58, 1.0, vcc
	s_mov_b32 s4, 0x40200
	v_fmac_f32_e32 v11, v58, v59
	s_waitcnt vmcnt(0)
	v_sub_f32_e32 v58, v9, v4
	buffer_load_dword v9, off, s[0:3], s4   ; 4-byte Folded Reload
	s_mov_b32 s4, 0x40300
	s_waitcnt vmcnt(0)
	v_sub_f32_e32 v59, v9, v5
	buffer_load_dword v9, off, s[0:3], s4   ; 4-byte Folded Reload
	v_mul_f32_e32 v59, v59, v59
	v_fmac_f32_e32 v59, v58, v58
	s_waitcnt vmcnt(0)
	v_sub_f32_e32 v60, v9, v6
	v_fmac_f32_e32 v59, v60, v60
	v_cmp_gt_f32_e32 vcc, s36, v59
	v_mul_f32_e32 v58, 0x4f800000, v59
	v_cndmask_b32_e32 v58, v59, v58, vcc
	v_sqrt_f32_e32 v59, v58
	v_add_u32_e32 v60, -1, v59
	v_fma_f32 v61, -v60, v59, v58
	v_cmp_ge_f32_e64 s[4:5], 0, v61
	v_add_u32_e32 v61, 1, v59
	v_cndmask_b32_e64 v60, v59, v60, s[4:5]
	v_fma_f32 v59, -v61, v59, v58
	v_cmp_lt_f32_e64 s[4:5], 0, v59
	v_cndmask_b32_e64 v59, v60, v61, s[4:5]
	v_mul_f32_e32 v60, 0x37800000, v59
	v_cndmask_b32_e32 v59, v59, v60, vcc
	v_cmp_class_f32_e32 vcc, v58, v15
	v_cndmask_b32_e32 v58, v59, v58, vcc
	v_sub_f32_e32 v59, v58, v55
	v_cmp_gt_f32_e32 vcc, 0, v59
	v_fma_f32 v58, -v57, v58, 1.0
	v_cndmask_b32_e32 v60, 0, v36, vcc
	v_fmac_f32_e32 v10, v58, v60
	v_fma_f32 v58, -v56, v59, 1.0
	v_cmp_lt_f32_e64 s[4:5], v59, v52
	v_cndmask_b32_e64 v58, v58, 1.0, vcc
	v_cndmask_b32_e64 v60, 0, 1.0, s[4:5]
	v_mul_f32_e32 v58, v60, v58
	v_mul_f32_e32 v58, v54, v58
	v_cmp_lt_f32_e64 s[4:5], v59, v7
	v_cndmask_b32_e64 v58, v58, -|v58|, s[28:29]
	s_and_b64 s[4:5], s[14:15], s[4:5]
	v_fmac_f32_e32 v10, 0x42340000, v58
	v_fma_f32 v58, -v53, v59, 1.0
	v_cndmask_b32_e64 v59, 0, 1.0, s[4:5]
	s_mov_b32 s4, 0x40400
	buffer_load_dword v9, off, s[0:3], s4   ; 4-byte Folded Reload
	v_mul_f32_e32 v59, v51, v59
	v_cndmask_b32_e64 v58, v58, 1.0, vcc
	s_mov_b32 s4, 0x40500
	v_fmac_f32_e32 v10, v58, v59
	s_waitcnt vmcnt(0)
	v_sub_f32_e32 v58, v9, v4
	buffer_load_dword v9, off, s[0:3], s4   ; 4-byte Folded Reload
	s_mov_b32 s4, 0x40600
	;; [unrolled: 51-line block ×4, first 2 shown]
	s_waitcnt vmcnt(0)
	v_sub_f32_e32 v59, v9, v5
	buffer_load_dword v9, off, s[0:3], s4   ; 4-byte Folded Reload
	v_mul_f32_e32 v59, v59, v59
	v_fmac_f32_e32 v59, v58, v58
	s_waitcnt vmcnt(0)
	v_sub_f32_e32 v60, v9, v6
	buffer_load_dword v9, off, s[0:3], 0 offset:3412 ; 4-byte Folded Reload
	v_fmac_f32_e32 v59, v60, v60
	v_cmp_gt_f32_e32 vcc, s36, v59
	v_mul_f32_e32 v58, 0x4f800000, v59
	v_cndmask_b32_e32 v58, v59, v58, vcc
	v_sqrt_f32_e32 v59, v58
	v_add_u32_e32 v60, -1, v59
	v_fma_f32 v61, -v60, v59, v58
	v_cmp_ge_f32_e64 s[4:5], 0, v61
	v_add_u32_e32 v61, 1, v59
	v_cndmask_b32_e64 v60, v59, v60, s[4:5]
	v_fma_f32 v59, -v61, v59, v58
	v_cmp_lt_f32_e64 s[4:5], 0, v59
	v_cndmask_b32_e64 v59, v60, v61, s[4:5]
	v_mul_f32_e32 v60, 0x37800000, v59
	v_cndmask_b32_e32 v59, v59, v60, vcc
	v_cmp_class_f32_e32 vcc, v58, v15
	v_cndmask_b32_e32 v58, v59, v58, vcc
	v_sub_f32_e32 v59, v58, v55
	v_cmp_gt_f32_e32 vcc, 0, v59
	v_fma_f32 v58, -v57, v58, 1.0
	v_cndmask_b32_e32 v60, 0, v36, vcc
	v_cmp_lt_f32_e64 s[4:5], v59, v52
	s_waitcnt vmcnt(0)
	v_fmac_f32_e32 v9, v58, v60
	v_fma_f32 v58, -v56, v59, 1.0
	v_cndmask_b32_e64 v58, v58, 1.0, vcc
	v_cndmask_b32_e64 v60, 0, 1.0, s[4:5]
	v_mul_f32_e32 v58, v60, v58
	v_mul_f32_e32 v58, v54, v58
	v_cmp_lt_f32_e64 s[4:5], v59, v7
	v_cndmask_b32_e64 v58, v58, -|v58|, s[28:29]
	s_and_b64 s[4:5], s[14:15], s[4:5]
	v_fmac_f32_e32 v9, 0x42340000, v58
	v_fma_f32 v58, -v53, v59, 1.0
	v_cndmask_b32_e64 v59, 0, 1.0, s[4:5]
	v_mul_f32_e32 v59, v51, v59
	v_cndmask_b32_e64 v58, v58, 1.0, vcc
	v_fmac_f32_e32 v9, v58, v59
	s_mov_b32 s4, 0x40d00
	buffer_store_dword v9, off, s[0:3], 0 offset:3412 ; 4-byte Folded Spill
	buffer_load_dword v9, off, s[0:3], s4   ; 4-byte Folded Reload
	s_mov_b32 s4, 0x40e00
	s_waitcnt vmcnt(0)
	v_sub_f32_e32 v58, v9, v4
	buffer_load_dword v9, off, s[0:3], s4   ; 4-byte Folded Reload
	s_mov_b32 s4, 0x40f00
	s_waitcnt vmcnt(0)
	v_sub_f32_e32 v59, v9, v5
	buffer_load_dword v9, off, s[0:3], s4   ; 4-byte Folded Reload
	v_mul_f32_e32 v59, v59, v59
	v_fmac_f32_e32 v59, v58, v58
	s_waitcnt vmcnt(0)
	v_sub_f32_e32 v60, v9, v6
	buffer_load_dword v9, off, s[0:3], 0 offset:3408 ; 4-byte Folded Reload
	v_fmac_f32_e32 v59, v60, v60
	v_cmp_gt_f32_e32 vcc, s36, v59
	v_mul_f32_e32 v58, 0x4f800000, v59
	v_cndmask_b32_e32 v58, v59, v58, vcc
	v_sqrt_f32_e32 v59, v58
	v_add_u32_e32 v60, -1, v59
	v_fma_f32 v61, -v60, v59, v58
	v_cmp_ge_f32_e64 s[4:5], 0, v61
	v_add_u32_e32 v61, 1, v59
	v_cndmask_b32_e64 v60, v59, v60, s[4:5]
	v_fma_f32 v59, -v61, v59, v58
	v_cmp_lt_f32_e64 s[4:5], 0, v59
	v_cndmask_b32_e64 v59, v60, v61, s[4:5]
	v_mul_f32_e32 v60, 0x37800000, v59
	v_cndmask_b32_e32 v59, v59, v60, vcc
	v_cmp_class_f32_e32 vcc, v58, v15
	v_cndmask_b32_e32 v58, v59, v58, vcc
	v_sub_f32_e32 v59, v58, v55
	v_cmp_gt_f32_e32 vcc, 0, v59
	v_fma_f32 v58, -v57, v58, 1.0
	v_cndmask_b32_e32 v60, 0, v36, vcc
	v_cmp_lt_f32_e64 s[4:5], v59, v52
	s_waitcnt vmcnt(0)
	v_fmac_f32_e32 v9, v58, v60
	v_fma_f32 v58, -v56, v59, 1.0
	v_cndmask_b32_e64 v58, v58, 1.0, vcc
	v_cndmask_b32_e64 v60, 0, 1.0, s[4:5]
	v_mul_f32_e32 v58, v60, v58
	v_mul_f32_e32 v58, v54, v58
	v_cmp_lt_f32_e64 s[4:5], v59, v7
	v_cndmask_b32_e64 v58, v58, -|v58|, s[28:29]
	s_and_b64 s[4:5], s[14:15], s[4:5]
	v_fmac_f32_e32 v9, 0x42340000, v58
	v_fma_f32 v58, -v53, v59, 1.0
	v_cndmask_b32_e64 v59, 0, 1.0, s[4:5]
	v_mul_f32_e32 v59, v51, v59
	v_cndmask_b32_e64 v58, v58, 1.0, vcc
	v_fmac_f32_e32 v9, v58, v59
	s_mov_b32 s4, 0x41000
	buffer_store_dword v9, off, s[0:3], 0 offset:3408 ; 4-byte Folded Spill
	buffer_load_dword v9, off, s[0:3], s4   ; 4-byte Folded Reload
	s_mov_b32 s4, 0x41100
	s_waitcnt vmcnt(0)
	v_sub_f32_e32 v58, v9, v4
	buffer_load_dword v9, off, s[0:3], s4   ; 4-byte Folded Reload
	s_mov_b32 s4, 0x41200
	;; [unrolled: 54-line block ×3, first 2 shown]
	s_waitcnt vmcnt(0)
	v_sub_f32_e32 v59, v9, v5
	buffer_load_dword v9, off, s[0:3], s4   ; 4-byte Folded Reload
	v_mul_f32_e32 v59, v59, v59
	v_fmac_f32_e32 v59, v58, v58
	s_waitcnt vmcnt(0)
	v_sub_f32_e32 v60, v9, v6
	buffer_load_dword v9, off, s[0:3], 0 offset:3400 ; 4-byte Folded Reload
	v_fmac_f32_e32 v59, v60, v60
	v_cmp_gt_f32_e32 vcc, s36, v59
	v_mul_f32_e32 v58, 0x4f800000, v59
	v_cndmask_b32_e32 v58, v59, v58, vcc
	v_sqrt_f32_e32 v59, v58
	v_add_u32_e32 v60, -1, v59
	v_fma_f32 v61, -v60, v59, v58
	v_cmp_ge_f32_e64 s[4:5], 0, v61
	v_add_u32_e32 v61, 1, v59
	v_cndmask_b32_e64 v60, v59, v60, s[4:5]
	v_fma_f32 v59, -v61, v59, v58
	v_cmp_lt_f32_e64 s[4:5], 0, v59
	v_cndmask_b32_e64 v59, v60, v61, s[4:5]
	v_mul_f32_e32 v60, 0x37800000, v59
	v_cndmask_b32_e32 v59, v59, v60, vcc
	v_cmp_class_f32_e32 vcc, v58, v15
	v_cndmask_b32_e32 v58, v59, v58, vcc
	v_sub_f32_e32 v59, v58, v55
	v_cmp_gt_f32_e32 vcc, 0, v59
	v_fma_f32 v58, -v57, v58, 1.0
	v_cndmask_b32_e32 v60, 0, v36, vcc
	v_cmp_lt_f32_e64 s[4:5], v59, v52
	s_waitcnt vmcnt(0)
	v_fmac_f32_e32 v9, v58, v60
	v_fma_f32 v58, -v56, v59, 1.0
	v_cndmask_b32_e64 v58, v58, 1.0, vcc
	v_cndmask_b32_e64 v60, 0, 1.0, s[4:5]
	v_mul_f32_e32 v58, v60, v58
	v_mul_f32_e32 v58, v54, v58
	v_cmp_lt_f32_e64 s[4:5], v59, v7
	v_cndmask_b32_e64 v58, v58, -|v58|, s[28:29]
	s_and_b64 s[4:5], s[14:15], s[4:5]
	v_fmac_f32_e32 v9, 0x42340000, v58
	v_fma_f32 v58, -v53, v59, 1.0
	v_cndmask_b32_e64 v59, 0, 1.0, s[4:5]
	v_mul_f32_e32 v59, v51, v59
	v_cndmask_b32_e64 v58, v58, 1.0, vcc
	v_fmac_f32_e32 v9, v58, v59
	buffer_load_dword v58, off, s[0:3], 0 offset:3416 ; 4-byte Folded Reload
	buffer_load_dword v59, off, s[0:3], 0 offset:3420 ; 4-byte Folded Reload
	buffer_load_dword v60, off, s[0:3], 0 offset:3424 ; 4-byte Folded Reload
	s_waitcnt vmcnt(1)
	v_sub_f32_e32 v59, v59, v5
	buffer_store_dword v9, off, s[0:3], 0 offset:3400 ; 4-byte Folded Spill
	buffer_load_dword v9, off, s[0:3], 0 offset:3396 ; 4-byte Folded Reload
	v_sub_f32_e32 v58, v58, v4
	v_mul_f32_e32 v59, v59, v59
	s_waitcnt vmcnt(2)
	v_sub_f32_e32 v60, v60, v6
	v_fmac_f32_e32 v59, v58, v58
	v_fmac_f32_e32 v59, v60, v60
	v_cmp_gt_f32_e32 vcc, s36, v59
	v_mul_f32_e32 v58, 0x4f800000, v59
	v_cndmask_b32_e32 v58, v59, v58, vcc
	v_sqrt_f32_e32 v59, v58
	v_add_u32_e32 v60, -1, v59
	v_fma_f32 v61, -v60, v59, v58
	v_cmp_ge_f32_e64 s[4:5], 0, v61
	v_add_u32_e32 v61, 1, v59
	v_cndmask_b32_e64 v60, v59, v60, s[4:5]
	v_fma_f32 v59, -v61, v59, v58
	v_cmp_lt_f32_e64 s[4:5], 0, v59
	v_cndmask_b32_e64 v59, v60, v61, s[4:5]
	v_mul_f32_e32 v60, 0x37800000, v59
	v_cndmask_b32_e32 v59, v59, v60, vcc
	v_cmp_class_f32_e32 vcc, v58, v15
	v_cndmask_b32_e32 v58, v59, v58, vcc
	v_sub_f32_e32 v59, v58, v55
	v_cmp_gt_f32_e32 vcc, 0, v59
	v_fma_f32 v58, -v57, v58, 1.0
	v_cndmask_b32_e32 v60, 0, v36, vcc
	v_cmp_lt_f32_e64 s[4:5], v59, v52
	s_waitcnt vmcnt(0)
	v_fmac_f32_e32 v9, v58, v60
	v_fma_f32 v58, -v56, v59, 1.0
	v_cndmask_b32_e64 v58, v58, 1.0, vcc
	v_cndmask_b32_e64 v60, 0, 1.0, s[4:5]
	v_mul_f32_e32 v58, v60, v58
	v_mul_f32_e32 v58, v54, v58
	v_cmp_lt_f32_e64 s[4:5], v59, v7
	v_cndmask_b32_e64 v58, v58, -|v58|, s[28:29]
	s_and_b64 s[4:5], s[14:15], s[4:5]
	v_fmac_f32_e32 v9, 0x42340000, v58
	v_fma_f32 v58, -v53, v59, 1.0
	v_cndmask_b32_e64 v59, 0, 1.0, s[4:5]
	v_mul_f32_e32 v59, v51, v59
	v_cndmask_b32_e64 v58, v58, 1.0, vcc
	v_fmac_f32_e32 v9, v58, v59
	buffer_load_dword v58, off, s[0:3], 0 offset:3428 ; 4-byte Folded Reload
	buffer_load_dword v59, off, s[0:3], 0 offset:3432 ; 4-byte Folded Reload
	buffer_load_dword v60, off, s[0:3], 0 offset:3436 ; 4-byte Folded Reload
	s_waitcnt vmcnt(1)
	v_sub_f32_e32 v59, v59, v5
	buffer_store_dword v9, off, s[0:3], 0 offset:3396 ; 4-byte Folded Spill
	buffer_load_dword v9, off, s[0:3], 0 offset:3392 ; 4-byte Folded Reload
	v_sub_f32_e32 v58, v58, v4
	v_mul_f32_e32 v59, v59, v59
	s_waitcnt vmcnt(2)
	v_sub_f32_e32 v60, v60, v6
	v_fmac_f32_e32 v59, v58, v58
	v_fmac_f32_e32 v59, v60, v60
	v_cmp_gt_f32_e32 vcc, s36, v59
	v_mul_f32_e32 v58, 0x4f800000, v59
	v_cndmask_b32_e32 v58, v59, v58, vcc
	v_sqrt_f32_e32 v59, v58
	v_add_u32_e32 v60, -1, v59
	v_fma_f32 v61, -v60, v59, v58
	v_cmp_ge_f32_e64 s[4:5], 0, v61
	v_add_u32_e32 v61, 1, v59
	v_cndmask_b32_e64 v60, v59, v60, s[4:5]
	v_fma_f32 v59, -v61, v59, v58
	v_cmp_lt_f32_e64 s[4:5], 0, v59
	v_cndmask_b32_e64 v59, v60, v61, s[4:5]
	v_mul_f32_e32 v60, 0x37800000, v59
	v_cndmask_b32_e32 v59, v59, v60, vcc
	v_cmp_class_f32_e32 vcc, v58, v15
	v_cndmask_b32_e32 v58, v59, v58, vcc
	v_sub_f32_e32 v59, v58, v55
	v_cmp_gt_f32_e32 vcc, 0, v59
	v_fma_f32 v58, -v57, v58, 1.0
	v_cndmask_b32_e32 v60, 0, v36, vcc
	v_cmp_lt_f32_e64 s[4:5], v59, v52
	s_waitcnt vmcnt(0)
	v_fmac_f32_e32 v9, v58, v60
	v_fma_f32 v58, -v56, v59, 1.0
	v_cndmask_b32_e64 v58, v58, 1.0, vcc
	v_cndmask_b32_e64 v60, 0, 1.0, s[4:5]
	v_mul_f32_e32 v58, v60, v58
	v_mul_f32_e32 v58, v54, v58
	v_cmp_lt_f32_e64 s[4:5], v59, v7
	v_cndmask_b32_e64 v58, v58, -|v58|, s[28:29]
	s_and_b64 s[4:5], s[14:15], s[4:5]
	v_fmac_f32_e32 v9, 0x42340000, v58
	v_fma_f32 v58, -v53, v59, 1.0
	v_cndmask_b32_e64 v59, 0, 1.0, s[4:5]
	v_mul_f32_e32 v59, v51, v59
	v_cndmask_b32_e64 v58, v58, 1.0, vcc
	v_fmac_f32_e32 v9, v58, v59
	buffer_load_dword v58, off, s[0:3], 0 offset:3440 ; 4-byte Folded Reload
	buffer_load_dword v59, off, s[0:3], 0 offset:3444 ; 4-byte Folded Reload
	buffer_load_dword v60, off, s[0:3], 0 offset:3448 ; 4-byte Folded Reload
	s_waitcnt vmcnt(1)
	v_sub_f32_e32 v59, v59, v5
	buffer_store_dword v9, off, s[0:3], 0 offset:3392 ; 4-byte Folded Spill
	buffer_load_dword v9, off, s[0:3], 0 offset:3388 ; 4-byte Folded Reload
	v_sub_f32_e32 v58, v58, v4
	v_mul_f32_e32 v59, v59, v59
	s_waitcnt vmcnt(2)
	v_sub_f32_e32 v60, v60, v6
	v_fmac_f32_e32 v59, v58, v58
	v_fmac_f32_e32 v59, v60, v60
	v_cmp_gt_f32_e32 vcc, s36, v59
	v_mul_f32_e32 v58, 0x4f800000, v59
	v_cndmask_b32_e32 v58, v59, v58, vcc
	v_sqrt_f32_e32 v59, v58
	v_add_u32_e32 v60, -1, v59
	v_fma_f32 v61, -v60, v59, v58
	v_cmp_ge_f32_e64 s[4:5], 0, v61
	v_add_u32_e32 v61, 1, v59
	v_cndmask_b32_e64 v60, v59, v60, s[4:5]
	v_fma_f32 v59, -v61, v59, v58
	v_cmp_lt_f32_e64 s[4:5], 0, v59
	v_cndmask_b32_e64 v59, v60, v61, s[4:5]
	v_mul_f32_e32 v60, 0x37800000, v59
	v_cndmask_b32_e32 v59, v59, v60, vcc
	v_cmp_class_f32_e32 vcc, v58, v15
	v_cndmask_b32_e32 v58, v59, v58, vcc
	v_sub_f32_e32 v59, v58, v55
	v_cmp_gt_f32_e32 vcc, 0, v59
	v_fma_f32 v58, -v57, v58, 1.0
	v_cndmask_b32_e32 v60, 0, v36, vcc
	v_cmp_lt_f32_e64 s[4:5], v59, v52
	s_waitcnt vmcnt(0)
	v_fmac_f32_e32 v9, v58, v60
	v_fma_f32 v58, -v56, v59, 1.0
	v_cndmask_b32_e64 v58, v58, 1.0, vcc
	v_cndmask_b32_e64 v60, 0, 1.0, s[4:5]
	v_mul_f32_e32 v58, v60, v58
	v_mul_f32_e32 v58, v54, v58
	v_cmp_lt_f32_e64 s[4:5], v59, v7
	v_cndmask_b32_e64 v58, v58, -|v58|, s[28:29]
	s_and_b64 s[4:5], s[14:15], s[4:5]
	v_fmac_f32_e32 v9, 0x42340000, v58
	v_fma_f32 v58, -v53, v59, 1.0
	v_cndmask_b32_e64 v59, 0, 1.0, s[4:5]
	v_mul_f32_e32 v59, v51, v59
	v_cndmask_b32_e64 v58, v58, 1.0, vcc
	v_fmac_f32_e32 v9, v58, v59
	buffer_load_dword v58, off, s[0:3], 0 offset:3452 ; 4-byte Folded Reload
	buffer_load_dword v59, off, s[0:3], 0 offset:3456 ; 4-byte Folded Reload
	buffer_load_dword v60, off, s[0:3], 0 offset:3460 ; 4-byte Folded Reload
	s_waitcnt vmcnt(1)
	v_sub_f32_e32 v59, v59, v5
	buffer_store_dword v9, off, s[0:3], 0 offset:3388 ; 4-byte Folded Spill
	buffer_load_dword v9, off, s[0:3], 0 offset:3384 ; 4-byte Folded Reload
	v_sub_f32_e32 v58, v58, v4
	v_mul_f32_e32 v59, v59, v59
	s_waitcnt vmcnt(2)
	v_sub_f32_e32 v60, v60, v6
	v_fmac_f32_e32 v59, v58, v58
	v_fmac_f32_e32 v59, v60, v60
	v_cmp_gt_f32_e32 vcc, s36, v59
	v_mul_f32_e32 v58, 0x4f800000, v59
	v_cndmask_b32_e32 v58, v59, v58, vcc
	v_sqrt_f32_e32 v59, v58
	v_add_u32_e32 v60, -1, v59
	v_fma_f32 v61, -v60, v59, v58
	v_cmp_ge_f32_e64 s[4:5], 0, v61
	v_add_u32_e32 v61, 1, v59
	v_cndmask_b32_e64 v60, v59, v60, s[4:5]
	v_fma_f32 v59, -v61, v59, v58
	v_cmp_lt_f32_e64 s[4:5], 0, v59
	v_cndmask_b32_e64 v59, v60, v61, s[4:5]
	v_mul_f32_e32 v60, 0x37800000, v59
	v_cndmask_b32_e32 v59, v59, v60, vcc
	v_cmp_class_f32_e32 vcc, v58, v15
	v_cndmask_b32_e32 v58, v59, v58, vcc
	v_sub_f32_e32 v59, v58, v55
	v_cmp_gt_f32_e32 vcc, 0, v59
	v_fma_f32 v58, -v57, v58, 1.0
	v_cndmask_b32_e32 v60, 0, v36, vcc
	v_cmp_lt_f32_e64 s[4:5], v59, v52
	s_waitcnt vmcnt(0)
	v_fmac_f32_e32 v9, v58, v60
	v_fma_f32 v58, -v56, v59, 1.0
	v_cndmask_b32_e64 v58, v58, 1.0, vcc
	v_cndmask_b32_e64 v60, 0, 1.0, s[4:5]
	v_mul_f32_e32 v58, v60, v58
	v_mul_f32_e32 v58, v54, v58
	v_cmp_lt_f32_e64 s[4:5], v59, v7
	v_cndmask_b32_e64 v58, v58, -|v58|, s[28:29]
	s_and_b64 s[4:5], s[14:15], s[4:5]
	v_fmac_f32_e32 v9, 0x42340000, v58
	v_fma_f32 v58, -v53, v59, 1.0
	v_cndmask_b32_e64 v59, 0, 1.0, s[4:5]
	v_mul_f32_e32 v59, v51, v59
	v_cndmask_b32_e64 v58, v58, 1.0, vcc
	v_fmac_f32_e32 v9, v58, v59
	buffer_load_dword v58, off, s[0:3], 0 offset:3464 ; 4-byte Folded Reload
	buffer_load_dword v59, off, s[0:3], 0 offset:3468 ; 4-byte Folded Reload
	buffer_load_dword v60, off, s[0:3], 0 offset:3472 ; 4-byte Folded Reload
	s_waitcnt vmcnt(1)
	v_sub_f32_e32 v59, v59, v5
	buffer_store_dword v9, off, s[0:3], 0 offset:3384 ; 4-byte Folded Spill
	buffer_load_dword v9, off, s[0:3], 0 offset:3380 ; 4-byte Folded Reload
	v_sub_f32_e32 v58, v58, v4
	v_mul_f32_e32 v59, v59, v59
	s_waitcnt vmcnt(2)
	v_sub_f32_e32 v60, v60, v6
	v_fmac_f32_e32 v59, v58, v58
	v_fmac_f32_e32 v59, v60, v60
	v_cmp_gt_f32_e32 vcc, s36, v59
	v_mul_f32_e32 v58, 0x4f800000, v59
	v_cndmask_b32_e32 v58, v59, v58, vcc
	v_sqrt_f32_e32 v59, v58
	v_add_u32_e32 v60, -1, v59
	v_fma_f32 v61, -v60, v59, v58
	v_cmp_ge_f32_e64 s[4:5], 0, v61
	v_add_u32_e32 v61, 1, v59
	v_cndmask_b32_e64 v60, v59, v60, s[4:5]
	v_fma_f32 v59, -v61, v59, v58
	v_cmp_lt_f32_e64 s[4:5], 0, v59
	v_cndmask_b32_e64 v59, v60, v61, s[4:5]
	v_mul_f32_e32 v60, 0x37800000, v59
	v_cndmask_b32_e32 v59, v59, v60, vcc
	v_cmp_class_f32_e32 vcc, v58, v15
	v_cndmask_b32_e32 v58, v59, v58, vcc
	v_sub_f32_e32 v59, v58, v55
	v_cmp_gt_f32_e32 vcc, 0, v59
	v_fma_f32 v58, -v57, v58, 1.0
	v_cndmask_b32_e32 v60, 0, v36, vcc
	v_cmp_lt_f32_e64 s[4:5], v59, v52
	s_waitcnt vmcnt(0)
	v_fmac_f32_e32 v9, v58, v60
	v_fma_f32 v58, -v56, v59, 1.0
	v_cndmask_b32_e64 v58, v58, 1.0, vcc
	v_cndmask_b32_e64 v60, 0, 1.0, s[4:5]
	v_mul_f32_e32 v58, v60, v58
	v_mul_f32_e32 v58, v54, v58
	v_cmp_lt_f32_e64 s[4:5], v59, v7
	v_cndmask_b32_e64 v58, v58, -|v58|, s[28:29]
	s_and_b64 s[4:5], s[14:15], s[4:5]
	v_fmac_f32_e32 v9, 0x42340000, v58
	v_fma_f32 v58, -v53, v59, 1.0
	v_cndmask_b32_e64 v59, 0, 1.0, s[4:5]
	v_mul_f32_e32 v59, v51, v59
	v_cndmask_b32_e64 v58, v58, 1.0, vcc
	v_fmac_f32_e32 v9, v58, v59
	buffer_load_dword v58, off, s[0:3], 0 offset:3476 ; 4-byte Folded Reload
	buffer_load_dword v59, off, s[0:3], 0 offset:3480 ; 4-byte Folded Reload
	buffer_load_dword v60, off, s[0:3], 0 offset:3484 ; 4-byte Folded Reload
	s_waitcnt vmcnt(1)
	v_sub_f32_e32 v59, v59, v5
	buffer_store_dword v9, off, s[0:3], 0 offset:3380 ; 4-byte Folded Spill
	buffer_load_dword v9, off, s[0:3], 0 offset:3376 ; 4-byte Folded Reload
	v_sub_f32_e32 v58, v58, v4
	v_mul_f32_e32 v59, v59, v59
	s_waitcnt vmcnt(2)
	v_sub_f32_e32 v60, v60, v6
	v_fmac_f32_e32 v59, v58, v58
	v_fmac_f32_e32 v59, v60, v60
	v_cmp_gt_f32_e32 vcc, s36, v59
	v_mul_f32_e32 v58, 0x4f800000, v59
	v_cndmask_b32_e32 v58, v59, v58, vcc
	v_sqrt_f32_e32 v59, v58
	v_add_u32_e32 v60, -1, v59
	v_fma_f32 v61, -v60, v59, v58
	v_cmp_ge_f32_e64 s[4:5], 0, v61
	v_add_u32_e32 v61, 1, v59
	v_cndmask_b32_e64 v60, v59, v60, s[4:5]
	v_fma_f32 v59, -v61, v59, v58
	v_cmp_lt_f32_e64 s[4:5], 0, v59
	v_cndmask_b32_e64 v59, v60, v61, s[4:5]
	v_mul_f32_e32 v60, 0x37800000, v59
	v_cndmask_b32_e32 v59, v59, v60, vcc
	v_cmp_class_f32_e32 vcc, v58, v15
	v_cndmask_b32_e32 v58, v59, v58, vcc
	v_sub_f32_e32 v59, v58, v55
	v_cmp_gt_f32_e32 vcc, 0, v59
	v_fma_f32 v58, -v57, v58, 1.0
	v_cndmask_b32_e32 v60, 0, v36, vcc
	v_cmp_lt_f32_e64 s[4:5], v59, v52
	s_waitcnt vmcnt(0)
	v_fmac_f32_e32 v9, v58, v60
	v_fma_f32 v58, -v56, v59, 1.0
	v_cndmask_b32_e64 v58, v58, 1.0, vcc
	v_cndmask_b32_e64 v60, 0, 1.0, s[4:5]
	v_mul_f32_e32 v58, v60, v58
	v_mul_f32_e32 v58, v54, v58
	v_cmp_lt_f32_e64 s[4:5], v59, v7
	v_cndmask_b32_e64 v58, v58, -|v58|, s[28:29]
	s_and_b64 s[4:5], s[14:15], s[4:5]
	v_fmac_f32_e32 v9, 0x42340000, v58
	v_fma_f32 v58, -v53, v59, 1.0
	v_cndmask_b32_e64 v59, 0, 1.0, s[4:5]
	v_mul_f32_e32 v59, v51, v59
	v_cndmask_b32_e64 v58, v58, 1.0, vcc
	v_fmac_f32_e32 v9, v58, v59
	buffer_load_dword v58, off, s[0:3], 0 offset:3488 ; 4-byte Folded Reload
	buffer_load_dword v59, off, s[0:3], 0 offset:3492 ; 4-byte Folded Reload
	buffer_load_dword v60, off, s[0:3], 0 offset:3496 ; 4-byte Folded Reload
	s_waitcnt vmcnt(1)
	v_sub_f32_e32 v59, v59, v5
	buffer_store_dword v9, off, s[0:3], 0 offset:3376 ; 4-byte Folded Spill
	buffer_load_dword v9, off, s[0:3], 0 offset:3372 ; 4-byte Folded Reload
	v_sub_f32_e32 v58, v58, v4
	v_mul_f32_e32 v59, v59, v59
	s_waitcnt vmcnt(2)
	v_sub_f32_e32 v60, v60, v6
	v_fmac_f32_e32 v59, v58, v58
	v_fmac_f32_e32 v59, v60, v60
	v_cmp_gt_f32_e32 vcc, s36, v59
	v_mul_f32_e32 v58, 0x4f800000, v59
	v_cndmask_b32_e32 v58, v59, v58, vcc
	v_sqrt_f32_e32 v59, v58
	v_add_u32_e32 v60, -1, v59
	v_fma_f32 v61, -v60, v59, v58
	v_cmp_ge_f32_e64 s[4:5], 0, v61
	v_add_u32_e32 v61, 1, v59
	v_cndmask_b32_e64 v60, v59, v60, s[4:5]
	v_fma_f32 v59, -v61, v59, v58
	v_cmp_lt_f32_e64 s[4:5], 0, v59
	v_cndmask_b32_e64 v59, v60, v61, s[4:5]
	v_mul_f32_e32 v60, 0x37800000, v59
	v_cndmask_b32_e32 v59, v59, v60, vcc
	v_cmp_class_f32_e32 vcc, v58, v15
	v_cndmask_b32_e32 v58, v59, v58, vcc
	v_sub_f32_e32 v59, v58, v55
	v_cmp_gt_f32_e32 vcc, 0, v59
	v_fma_f32 v58, -v57, v58, 1.0
	v_cndmask_b32_e32 v60, 0, v36, vcc
	v_cmp_lt_f32_e64 s[4:5], v59, v52
	s_waitcnt vmcnt(0)
	v_fmac_f32_e32 v9, v58, v60
	v_fma_f32 v58, -v56, v59, 1.0
	v_cndmask_b32_e64 v58, v58, 1.0, vcc
	v_cndmask_b32_e64 v60, 0, 1.0, s[4:5]
	v_mul_f32_e32 v58, v60, v58
	v_mul_f32_e32 v58, v54, v58
	v_cmp_lt_f32_e64 s[4:5], v59, v7
	v_cndmask_b32_e64 v58, v58, -|v58|, s[28:29]
	s_and_b64 s[4:5], s[14:15], s[4:5]
	v_fmac_f32_e32 v9, 0x42340000, v58
	v_fma_f32 v58, -v53, v59, 1.0
	v_cndmask_b32_e64 v59, 0, 1.0, s[4:5]
	v_mul_f32_e32 v59, v51, v59
	v_cndmask_b32_e64 v58, v58, 1.0, vcc
	v_fmac_f32_e32 v9, v58, v59
	buffer_load_dword v58, off, s[0:3], 0 offset:3500 ; 4-byte Folded Reload
	buffer_load_dword v59, off, s[0:3], 0 offset:3504 ; 4-byte Folded Reload
	buffer_load_dword v60, off, s[0:3], 0 offset:3508 ; 4-byte Folded Reload
	s_waitcnt vmcnt(1)
	v_sub_f32_e32 v59, v59, v5
	buffer_store_dword v9, off, s[0:3], 0 offset:3372 ; 4-byte Folded Spill
	buffer_load_dword v9, off, s[0:3], 0 offset:3368 ; 4-byte Folded Reload
	v_sub_f32_e32 v58, v58, v4
	v_mul_f32_e32 v59, v59, v59
	s_waitcnt vmcnt(2)
	v_sub_f32_e32 v60, v60, v6
	v_fmac_f32_e32 v59, v58, v58
	v_fmac_f32_e32 v59, v60, v60
	v_cmp_gt_f32_e32 vcc, s36, v59
	v_mul_f32_e32 v58, 0x4f800000, v59
	v_cndmask_b32_e32 v58, v59, v58, vcc
	v_sqrt_f32_e32 v59, v58
	v_add_u32_e32 v60, -1, v59
	v_fma_f32 v61, -v60, v59, v58
	v_cmp_ge_f32_e64 s[4:5], 0, v61
	v_add_u32_e32 v61, 1, v59
	v_cndmask_b32_e64 v60, v59, v60, s[4:5]
	v_fma_f32 v59, -v61, v59, v58
	v_cmp_lt_f32_e64 s[4:5], 0, v59
	v_cndmask_b32_e64 v59, v60, v61, s[4:5]
	v_mul_f32_e32 v60, 0x37800000, v59
	v_cndmask_b32_e32 v59, v59, v60, vcc
	v_cmp_class_f32_e32 vcc, v58, v15
	v_cndmask_b32_e32 v58, v59, v58, vcc
	v_sub_f32_e32 v59, v58, v55
	v_cmp_gt_f32_e32 vcc, 0, v59
	v_fma_f32 v58, -v57, v58, 1.0
	v_cndmask_b32_e32 v60, 0, v36, vcc
	v_cmp_lt_f32_e64 s[4:5], v59, v52
	s_waitcnt vmcnt(0)
	v_fmac_f32_e32 v9, v58, v60
	v_fma_f32 v58, -v56, v59, 1.0
	v_cndmask_b32_e64 v58, v58, 1.0, vcc
	v_cndmask_b32_e64 v60, 0, 1.0, s[4:5]
	v_mul_f32_e32 v58, v60, v58
	v_mul_f32_e32 v58, v54, v58
	v_cmp_lt_f32_e64 s[4:5], v59, v7
	v_cndmask_b32_e64 v58, v58, -|v58|, s[28:29]
	s_and_b64 s[4:5], s[14:15], s[4:5]
	v_fmac_f32_e32 v9, 0x42340000, v58
	v_fma_f32 v58, -v53, v59, 1.0
	v_cndmask_b32_e64 v59, 0, 1.0, s[4:5]
	v_mul_f32_e32 v59, v51, v59
	v_cndmask_b32_e64 v58, v58, 1.0, vcc
	v_fmac_f32_e32 v9, v58, v59
	buffer_load_dword v58, off, s[0:3], 0 offset:3512 ; 4-byte Folded Reload
	buffer_load_dword v59, off, s[0:3], 0 offset:3516 ; 4-byte Folded Reload
	buffer_load_dword v60, off, s[0:3], 0 offset:3520 ; 4-byte Folded Reload
	s_waitcnt vmcnt(1)
	v_sub_f32_e32 v59, v59, v5
	buffer_store_dword v9, off, s[0:3], 0 offset:3368 ; 4-byte Folded Spill
	buffer_load_dword v9, off, s[0:3], 0 offset:3364 ; 4-byte Folded Reload
	v_sub_f32_e32 v58, v58, v4
	v_mul_f32_e32 v59, v59, v59
	s_waitcnt vmcnt(2)
	v_sub_f32_e32 v60, v60, v6
	v_fmac_f32_e32 v59, v58, v58
	v_fmac_f32_e32 v59, v60, v60
	v_cmp_gt_f32_e32 vcc, s36, v59
	v_mul_f32_e32 v58, 0x4f800000, v59
	v_cndmask_b32_e32 v58, v59, v58, vcc
	v_sqrt_f32_e32 v59, v58
	v_add_u32_e32 v60, -1, v59
	v_fma_f32 v61, -v60, v59, v58
	v_cmp_ge_f32_e64 s[4:5], 0, v61
	v_add_u32_e32 v61, 1, v59
	v_cndmask_b32_e64 v60, v59, v60, s[4:5]
	v_fma_f32 v59, -v61, v59, v58
	v_cmp_lt_f32_e64 s[4:5], 0, v59
	v_cndmask_b32_e64 v59, v60, v61, s[4:5]
	v_mul_f32_e32 v60, 0x37800000, v59
	v_cndmask_b32_e32 v59, v59, v60, vcc
	v_cmp_class_f32_e32 vcc, v58, v15
	v_cndmask_b32_e32 v58, v59, v58, vcc
	v_sub_f32_e32 v59, v58, v55
	v_cmp_gt_f32_e32 vcc, 0, v59
	v_fma_f32 v58, -v57, v58, 1.0
	v_cndmask_b32_e32 v60, 0, v36, vcc
	v_cmp_lt_f32_e64 s[4:5], v59, v52
	s_waitcnt vmcnt(0)
	v_fmac_f32_e32 v9, v58, v60
	v_fma_f32 v58, -v56, v59, 1.0
	v_cndmask_b32_e64 v58, v58, 1.0, vcc
	v_cndmask_b32_e64 v60, 0, 1.0, s[4:5]
	v_mul_f32_e32 v58, v60, v58
	v_mul_f32_e32 v58, v54, v58
	v_cmp_lt_f32_e64 s[4:5], v59, v7
	v_cndmask_b32_e64 v58, v58, -|v58|, s[28:29]
	s_and_b64 s[4:5], s[14:15], s[4:5]
	v_fmac_f32_e32 v9, 0x42340000, v58
	v_fma_f32 v58, -v53, v59, 1.0
	v_cndmask_b32_e64 v59, 0, 1.0, s[4:5]
	v_mul_f32_e32 v59, v51, v59
	v_cndmask_b32_e64 v58, v58, 1.0, vcc
	v_fmac_f32_e32 v9, v58, v59
	buffer_load_dword v58, off, s[0:3], 0 offset:3524 ; 4-byte Folded Reload
	buffer_load_dword v59, off, s[0:3], 0 offset:3528 ; 4-byte Folded Reload
	buffer_load_dword v60, off, s[0:3], 0 offset:3532 ; 4-byte Folded Reload
	s_waitcnt vmcnt(1)
	v_sub_f32_e32 v59, v59, v5
	buffer_store_dword v9, off, s[0:3], 0 offset:3364 ; 4-byte Folded Spill
	buffer_load_dword v9, off, s[0:3], 0 offset:3360 ; 4-byte Folded Reload
	v_sub_f32_e32 v58, v58, v4
	v_mul_f32_e32 v59, v59, v59
	s_waitcnt vmcnt(2)
	v_sub_f32_e32 v60, v60, v6
	v_fmac_f32_e32 v59, v58, v58
	v_fmac_f32_e32 v59, v60, v60
	v_cmp_gt_f32_e32 vcc, s36, v59
	v_mul_f32_e32 v58, 0x4f800000, v59
	v_cndmask_b32_e32 v58, v59, v58, vcc
	v_sqrt_f32_e32 v59, v58
	v_add_u32_e32 v60, -1, v59
	v_fma_f32 v61, -v60, v59, v58
	v_cmp_ge_f32_e64 s[4:5], 0, v61
	v_add_u32_e32 v61, 1, v59
	v_cndmask_b32_e64 v60, v59, v60, s[4:5]
	v_fma_f32 v59, -v61, v59, v58
	v_cmp_lt_f32_e64 s[4:5], 0, v59
	v_cndmask_b32_e64 v59, v60, v61, s[4:5]
	v_mul_f32_e32 v60, 0x37800000, v59
	v_cndmask_b32_e32 v59, v59, v60, vcc
	v_cmp_class_f32_e32 vcc, v58, v15
	v_cndmask_b32_e32 v58, v59, v58, vcc
	v_sub_f32_e32 v59, v58, v55
	v_cmp_gt_f32_e32 vcc, 0, v59
	v_fma_f32 v58, -v57, v58, 1.0
	v_cndmask_b32_e32 v60, 0, v36, vcc
	v_cmp_lt_f32_e64 s[4:5], v59, v52
	s_waitcnt vmcnt(0)
	v_fmac_f32_e32 v9, v58, v60
	v_fma_f32 v58, -v56, v59, 1.0
	v_cndmask_b32_e64 v58, v58, 1.0, vcc
	v_cndmask_b32_e64 v60, 0, 1.0, s[4:5]
	v_mul_f32_e32 v58, v60, v58
	v_mul_f32_e32 v58, v54, v58
	v_cmp_lt_f32_e64 s[4:5], v59, v7
	v_cndmask_b32_e64 v58, v58, -|v58|, s[28:29]
	s_and_b64 s[4:5], s[14:15], s[4:5]
	v_fmac_f32_e32 v9, 0x42340000, v58
	v_fma_f32 v58, -v53, v59, 1.0
	v_cndmask_b32_e64 v59, 0, 1.0, s[4:5]
	v_mul_f32_e32 v59, v51, v59
	v_cndmask_b32_e64 v58, v58, 1.0, vcc
	v_fmac_f32_e32 v9, v58, v59
	buffer_load_dword v58, off, s[0:3], 0 offset:3536 ; 4-byte Folded Reload
	buffer_load_dword v59, off, s[0:3], 0 offset:3540 ; 4-byte Folded Reload
	buffer_load_dword v60, off, s[0:3], 0 offset:3544 ; 4-byte Folded Reload
	s_waitcnt vmcnt(1)
	v_sub_f32_e32 v59, v59, v5
	buffer_store_dword v9, off, s[0:3], 0 offset:3360 ; 4-byte Folded Spill
	buffer_load_dword v9, off, s[0:3], 0 offset:3356 ; 4-byte Folded Reload
	v_sub_f32_e32 v58, v58, v4
	v_mul_f32_e32 v59, v59, v59
	s_waitcnt vmcnt(2)
	v_sub_f32_e32 v60, v60, v6
	v_fmac_f32_e32 v59, v58, v58
	v_fmac_f32_e32 v59, v60, v60
	v_cmp_gt_f32_e32 vcc, s36, v59
	v_mul_f32_e32 v58, 0x4f800000, v59
	v_cndmask_b32_e32 v58, v59, v58, vcc
	v_sqrt_f32_e32 v59, v58
	v_add_u32_e32 v60, -1, v59
	v_fma_f32 v61, -v60, v59, v58
	v_cmp_ge_f32_e64 s[4:5], 0, v61
	v_add_u32_e32 v61, 1, v59
	v_cndmask_b32_e64 v60, v59, v60, s[4:5]
	v_fma_f32 v59, -v61, v59, v58
	v_cmp_lt_f32_e64 s[4:5], 0, v59
	v_cndmask_b32_e64 v59, v60, v61, s[4:5]
	v_mul_f32_e32 v60, 0x37800000, v59
	v_cndmask_b32_e32 v59, v59, v60, vcc
	v_cmp_class_f32_e32 vcc, v58, v15
	v_cndmask_b32_e32 v58, v59, v58, vcc
	v_sub_f32_e32 v59, v58, v55
	v_cmp_gt_f32_e32 vcc, 0, v59
	v_fma_f32 v58, -v57, v58, 1.0
	v_cndmask_b32_e32 v60, 0, v36, vcc
	v_cmp_lt_f32_e64 s[4:5], v59, v52
	s_waitcnt vmcnt(0)
	v_fmac_f32_e32 v9, v58, v60
	v_fma_f32 v58, -v56, v59, 1.0
	v_cndmask_b32_e64 v58, v58, 1.0, vcc
	v_cndmask_b32_e64 v60, 0, 1.0, s[4:5]
	v_mul_f32_e32 v58, v60, v58
	v_mul_f32_e32 v58, v54, v58
	v_cmp_lt_f32_e64 s[4:5], v59, v7
	v_cndmask_b32_e64 v58, v58, -|v58|, s[28:29]
	s_and_b64 s[4:5], s[14:15], s[4:5]
	v_fmac_f32_e32 v9, 0x42340000, v58
	v_fma_f32 v58, -v53, v59, 1.0
	v_cndmask_b32_e64 v59, 0, 1.0, s[4:5]
	v_mul_f32_e32 v59, v51, v59
	v_cndmask_b32_e64 v58, v58, 1.0, vcc
	v_fmac_f32_e32 v9, v58, v59
	buffer_load_dword v58, off, s[0:3], 0 offset:3548 ; 4-byte Folded Reload
	buffer_load_dword v59, off, s[0:3], 0 offset:3552 ; 4-byte Folded Reload
	buffer_load_dword v60, off, s[0:3], 0 offset:3556 ; 4-byte Folded Reload
	s_waitcnt vmcnt(1)
	v_sub_f32_e32 v59, v59, v5
	buffer_store_dword v9, off, s[0:3], 0 offset:3356 ; 4-byte Folded Spill
	buffer_load_dword v9, off, s[0:3], 0 offset:3352 ; 4-byte Folded Reload
	v_sub_f32_e32 v58, v58, v4
	v_mul_f32_e32 v59, v59, v59
	s_waitcnt vmcnt(2)
	v_sub_f32_e32 v60, v60, v6
	v_fmac_f32_e32 v59, v58, v58
	v_fmac_f32_e32 v59, v60, v60
	v_cmp_gt_f32_e32 vcc, s36, v59
	v_mul_f32_e32 v58, 0x4f800000, v59
	v_cndmask_b32_e32 v58, v59, v58, vcc
	v_sqrt_f32_e32 v59, v58
	v_add_u32_e32 v60, -1, v59
	v_fma_f32 v61, -v60, v59, v58
	v_cmp_ge_f32_e64 s[4:5], 0, v61
	v_add_u32_e32 v61, 1, v59
	v_cndmask_b32_e64 v60, v59, v60, s[4:5]
	v_fma_f32 v59, -v61, v59, v58
	v_cmp_lt_f32_e64 s[4:5], 0, v59
	v_cndmask_b32_e64 v59, v60, v61, s[4:5]
	v_mul_f32_e32 v60, 0x37800000, v59
	v_cndmask_b32_e32 v59, v59, v60, vcc
	v_cmp_class_f32_e32 vcc, v58, v15
	v_cndmask_b32_e32 v58, v59, v58, vcc
	v_sub_f32_e32 v59, v58, v55
	v_cmp_gt_f32_e32 vcc, 0, v59
	v_fma_f32 v58, -v57, v58, 1.0
	v_cndmask_b32_e32 v60, 0, v36, vcc
	v_cmp_lt_f32_e64 s[4:5], v59, v52
	s_waitcnt vmcnt(0)
	v_fmac_f32_e32 v9, v58, v60
	v_fma_f32 v58, -v56, v59, 1.0
	v_cndmask_b32_e64 v58, v58, 1.0, vcc
	v_cndmask_b32_e64 v60, 0, 1.0, s[4:5]
	v_mul_f32_e32 v58, v60, v58
	v_mul_f32_e32 v58, v54, v58
	v_cmp_lt_f32_e64 s[4:5], v59, v7
	v_cndmask_b32_e64 v58, v58, -|v58|, s[28:29]
	s_and_b64 s[4:5], s[14:15], s[4:5]
	v_fmac_f32_e32 v9, 0x42340000, v58
	v_fma_f32 v58, -v53, v59, 1.0
	v_cndmask_b32_e64 v59, 0, 1.0, s[4:5]
	v_mul_f32_e32 v59, v51, v59
	v_cndmask_b32_e64 v58, v58, 1.0, vcc
	v_fmac_f32_e32 v9, v58, v59
	buffer_load_dword v58, off, s[0:3], 0 offset:3560 ; 4-byte Folded Reload
	buffer_load_dword v59, off, s[0:3], 0 offset:3564 ; 4-byte Folded Reload
	buffer_load_dword v60, off, s[0:3], 0 offset:3568 ; 4-byte Folded Reload
	s_waitcnt vmcnt(1)
	v_sub_f32_e32 v59, v59, v5
	buffer_store_dword v9, off, s[0:3], 0 offset:3352 ; 4-byte Folded Spill
	buffer_load_dword v9, off, s[0:3], 0 offset:3348 ; 4-byte Folded Reload
	v_sub_f32_e32 v58, v58, v4
	v_mul_f32_e32 v59, v59, v59
	s_waitcnt vmcnt(2)
	v_sub_f32_e32 v60, v60, v6
	v_fmac_f32_e32 v59, v58, v58
	v_fmac_f32_e32 v59, v60, v60
	v_cmp_gt_f32_e32 vcc, s36, v59
	v_mul_f32_e32 v58, 0x4f800000, v59
	v_cndmask_b32_e32 v58, v59, v58, vcc
	v_sqrt_f32_e32 v59, v58
	v_add_u32_e32 v60, -1, v59
	v_fma_f32 v61, -v60, v59, v58
	v_cmp_ge_f32_e64 s[4:5], 0, v61
	v_add_u32_e32 v61, 1, v59
	v_cndmask_b32_e64 v60, v59, v60, s[4:5]
	v_fma_f32 v59, -v61, v59, v58
	v_cmp_lt_f32_e64 s[4:5], 0, v59
	v_cndmask_b32_e64 v59, v60, v61, s[4:5]
	v_mul_f32_e32 v60, 0x37800000, v59
	v_cndmask_b32_e32 v59, v59, v60, vcc
	v_cmp_class_f32_e32 vcc, v58, v15
	v_cndmask_b32_e32 v58, v59, v58, vcc
	v_sub_f32_e32 v59, v58, v55
	v_cmp_gt_f32_e32 vcc, 0, v59
	v_fma_f32 v58, -v57, v58, 1.0
	v_cndmask_b32_e32 v60, 0, v36, vcc
	v_cmp_lt_f32_e64 s[4:5], v59, v52
	s_waitcnt vmcnt(0)
	v_fmac_f32_e32 v9, v58, v60
	v_fma_f32 v58, -v56, v59, 1.0
	v_cndmask_b32_e64 v58, v58, 1.0, vcc
	v_cndmask_b32_e64 v60, 0, 1.0, s[4:5]
	v_mul_f32_e32 v58, v60, v58
	v_mul_f32_e32 v58, v54, v58
	v_cmp_lt_f32_e64 s[4:5], v59, v7
	v_cndmask_b32_e64 v58, v58, -|v58|, s[28:29]
	s_and_b64 s[4:5], s[14:15], s[4:5]
	v_fmac_f32_e32 v9, 0x42340000, v58
	v_fma_f32 v58, -v53, v59, 1.0
	v_cndmask_b32_e64 v59, 0, 1.0, s[4:5]
	v_mul_f32_e32 v59, v51, v59
	v_cndmask_b32_e64 v58, v58, 1.0, vcc
	v_fmac_f32_e32 v9, v58, v59
	buffer_load_dword v58, off, s[0:3], 0 offset:3572 ; 4-byte Folded Reload
	buffer_load_dword v59, off, s[0:3], 0 offset:3576 ; 4-byte Folded Reload
	buffer_load_dword v60, off, s[0:3], 0 offset:3580 ; 4-byte Folded Reload
	s_waitcnt vmcnt(1)
	v_sub_f32_e32 v59, v59, v5
	buffer_store_dword v9, off, s[0:3], 0 offset:3348 ; 4-byte Folded Spill
	buffer_load_dword v9, off, s[0:3], 0 offset:3344 ; 4-byte Folded Reload
	v_sub_f32_e32 v58, v58, v4
	v_mul_f32_e32 v59, v59, v59
	s_waitcnt vmcnt(2)
	v_sub_f32_e32 v60, v60, v6
	v_fmac_f32_e32 v59, v58, v58
	v_fmac_f32_e32 v59, v60, v60
	v_cmp_gt_f32_e32 vcc, s36, v59
	v_mul_f32_e32 v58, 0x4f800000, v59
	v_cndmask_b32_e32 v58, v59, v58, vcc
	v_sqrt_f32_e32 v59, v58
	v_add_u32_e32 v60, -1, v59
	v_fma_f32 v61, -v60, v59, v58
	v_cmp_ge_f32_e64 s[4:5], 0, v61
	v_add_u32_e32 v61, 1, v59
	v_cndmask_b32_e64 v60, v59, v60, s[4:5]
	v_fma_f32 v59, -v61, v59, v58
	v_cmp_lt_f32_e64 s[4:5], 0, v59
	v_cndmask_b32_e64 v59, v60, v61, s[4:5]
	v_mul_f32_e32 v60, 0x37800000, v59
	v_cndmask_b32_e32 v59, v59, v60, vcc
	v_cmp_class_f32_e32 vcc, v58, v15
	v_cndmask_b32_e32 v58, v59, v58, vcc
	v_sub_f32_e32 v59, v58, v55
	v_cmp_gt_f32_e32 vcc, 0, v59
	v_fma_f32 v58, -v57, v58, 1.0
	v_cndmask_b32_e32 v60, 0, v36, vcc
	v_cmp_lt_f32_e64 s[4:5], v59, v52
	s_waitcnt vmcnt(0)
	v_fmac_f32_e32 v9, v58, v60
	v_fma_f32 v58, -v56, v59, 1.0
	v_cndmask_b32_e64 v58, v58, 1.0, vcc
	v_cndmask_b32_e64 v60, 0, 1.0, s[4:5]
	v_mul_f32_e32 v58, v60, v58
	v_mul_f32_e32 v58, v54, v58
	v_cmp_lt_f32_e64 s[4:5], v59, v7
	v_cndmask_b32_e64 v58, v58, -|v58|, s[28:29]
	s_and_b64 s[4:5], s[14:15], s[4:5]
	v_fmac_f32_e32 v9, 0x42340000, v58
	v_fma_f32 v58, -v53, v59, 1.0
	v_cndmask_b32_e64 v59, 0, 1.0, s[4:5]
	v_mul_f32_e32 v59, v51, v59
	v_cndmask_b32_e64 v58, v58, 1.0, vcc
	v_fmac_f32_e32 v9, v58, v59
	buffer_load_dword v58, off, s[0:3], 0 offset:3584 ; 4-byte Folded Reload
	buffer_load_dword v59, off, s[0:3], 0 offset:3588 ; 4-byte Folded Reload
	;; [unrolled: 1-line block ×3, first 2 shown]
	s_nop 0
	buffer_store_dword v9, off, s[0:3], 0 offset:3344 ; 4-byte Folded Spill
	buffer_load_dword v9, off, s[0:3], 0 offset:3864 ; 4-byte Folded Reload
	s_waitcnt vmcnt(4)
	v_sub_f32_e32 v58, v58, v4
	s_waitcnt vmcnt(3)
	v_sub_f32_e32 v59, v59, v5
	v_mul_f32_e32 v59, v59, v59
	s_waitcnt vmcnt(2)
	v_sub_f32_e32 v60, v60, v6
	v_fmac_f32_e32 v59, v58, v58
	v_fmac_f32_e32 v59, v60, v60
	v_cmp_gt_f32_e32 vcc, s36, v59
	v_mul_f32_e32 v58, 0x4f800000, v59
	v_cndmask_b32_e32 v58, v59, v58, vcc
	v_sqrt_f32_e32 v59, v58
	v_add_u32_e32 v60, -1, v59
	v_fma_f32 v61, -v60, v59, v58
	v_cmp_ge_f32_e64 s[4:5], 0, v61
	v_add_u32_e32 v61, 1, v59
	v_cndmask_b32_e64 v60, v59, v60, s[4:5]
	v_fma_f32 v59, -v61, v59, v58
	v_cmp_lt_f32_e64 s[4:5], 0, v59
	v_cndmask_b32_e64 v59, v60, v61, s[4:5]
	v_mul_f32_e32 v60, 0x37800000, v59
	v_cndmask_b32_e32 v59, v59, v60, vcc
	v_cmp_class_f32_e32 vcc, v58, v15
	v_cndmask_b32_e32 v58, v59, v58, vcc
	v_sub_f32_e32 v59, v58, v55
	v_cmp_gt_f32_e32 vcc, 0, v59
	v_fma_f32 v58, -v57, v58, 1.0
	v_cndmask_b32_e32 v60, 0, v36, vcc
	v_fmac_f32_e32 v49, v58, v60
	v_fma_f32 v58, -v56, v59, 1.0
	v_cmp_lt_f32_e64 s[4:5], v59, v52
	v_cndmask_b32_e64 v58, v58, 1.0, vcc
	v_cndmask_b32_e64 v60, 0, 1.0, s[4:5]
	v_mul_f32_e32 v58, v60, v58
	v_mul_f32_e32 v58, v54, v58
	v_cmp_lt_f32_e64 s[4:5], v59, v7
	v_cndmask_b32_e64 v58, v58, -|v58|, s[28:29]
	s_and_b64 s[4:5], s[14:15], s[4:5]
	v_fmac_f32_e32 v49, 0x42340000, v58
	v_fma_f32 v58, -v53, v59, 1.0
	v_cndmask_b32_e64 v59, 0, 1.0, s[4:5]
	v_mul_f32_e32 v59, v51, v59
	v_cndmask_b32_e64 v58, v58, 1.0, vcc
	v_fmac_f32_e32 v49, v58, v59
	buffer_load_dword v58, off, s[0:3], 0 offset:3596 ; 4-byte Folded Reload
	buffer_load_dword v59, off, s[0:3], 0 offset:3600 ; 4-byte Folded Reload
	buffer_load_dword v60, off, s[0:3], 0 offset:3604 ; 4-byte Folded Reload
	s_waitcnt vmcnt(2)
	v_sub_f32_e32 v58, v58, v4
	s_waitcnt vmcnt(1)
	v_sub_f32_e32 v59, v59, v5
	v_mul_f32_e32 v59, v59, v59
	s_waitcnt vmcnt(0)
	v_sub_f32_e32 v60, v60, v6
	v_fmac_f32_e32 v59, v58, v58
	v_fmac_f32_e32 v59, v60, v60
	v_cmp_gt_f32_e32 vcc, s36, v59
	v_mul_f32_e32 v58, 0x4f800000, v59
	v_cndmask_b32_e32 v58, v59, v58, vcc
	v_sqrt_f32_e32 v59, v58
	v_add_u32_e32 v60, -1, v59
	v_fma_f32 v61, -v60, v59, v58
	v_cmp_ge_f32_e64 s[4:5], 0, v61
	v_add_u32_e32 v61, 1, v59
	v_cndmask_b32_e64 v60, v59, v60, s[4:5]
	v_fma_f32 v59, -v61, v59, v58
	v_cmp_lt_f32_e64 s[4:5], 0, v59
	v_cndmask_b32_e64 v59, v60, v61, s[4:5]
	v_mul_f32_e32 v60, 0x37800000, v59
	v_cndmask_b32_e32 v59, v59, v60, vcc
	v_cmp_class_f32_e32 vcc, v58, v15
	v_cndmask_b32_e32 v58, v59, v58, vcc
	v_sub_f32_e32 v59, v58, v55
	v_cmp_gt_f32_e32 vcc, 0, v59
	v_fma_f32 v58, -v57, v58, 1.0
	v_cndmask_b32_e32 v60, 0, v36, vcc
	v_fmac_f32_e32 v46, v58, v60
	v_fma_f32 v58, -v56, v59, 1.0
	v_cmp_lt_f32_e64 s[4:5], v59, v52
	v_cndmask_b32_e64 v58, v58, 1.0, vcc
	v_cndmask_b32_e64 v60, 0, 1.0, s[4:5]
	v_mul_f32_e32 v58, v60, v58
	v_mul_f32_e32 v58, v54, v58
	v_cmp_lt_f32_e64 s[4:5], v59, v7
	v_cndmask_b32_e64 v58, v58, -|v58|, s[28:29]
	s_and_b64 s[4:5], s[14:15], s[4:5]
	v_fmac_f32_e32 v46, 0x42340000, v58
	v_fma_f32 v58, -v53, v59, 1.0
	v_cndmask_b32_e64 v59, 0, 1.0, s[4:5]
	v_mul_f32_e32 v59, v51, v59
	v_cndmask_b32_e64 v58, v58, 1.0, vcc
	v_fmac_f32_e32 v46, v58, v59
	buffer_load_dword v58, off, s[0:3], 0 offset:3608 ; 4-byte Folded Reload
	buffer_load_dword v59, off, s[0:3], 0 offset:3612 ; 4-byte Folded Reload
	;; [unrolled: 48-line block ×22, first 2 shown]
	buffer_load_dword v60, off, s[0:3], 0 offset:3856 ; 4-byte Folded Reload
	s_waitcnt vmcnt(2)
	v_sub_f32_e32 v58, v58, v4
	s_waitcnt vmcnt(1)
	v_sub_f32_e32 v59, v59, v5
	v_mul_f32_e32 v59, v59, v59
	s_waitcnt vmcnt(0)
	v_sub_f32_e32 v60, v60, v6
	v_fmac_f32_e32 v59, v58, v58
	v_fmac_f32_e32 v59, v60, v60
	v_cmp_gt_f32_e32 vcc, s36, v59
	v_mul_f32_e32 v58, 0x4f800000, v59
	v_cndmask_b32_e32 v58, v59, v58, vcc
	v_sqrt_f32_e32 v59, v58
	v_add_u32_e32 v60, -1, v59
	v_fma_f32 v61, -v60, v59, v58
	v_cmp_ge_f32_e64 s[4:5], 0, v61
	v_add_u32_e32 v61, 1, v59
	v_cndmask_b32_e64 v60, v59, v60, s[4:5]
	v_fma_f32 v59, -v61, v59, v58
	v_cmp_lt_f32_e64 s[4:5], 0, v59
	v_cndmask_b32_e64 v59, v60, v61, s[4:5]
	v_mul_f32_e32 v60, 0x37800000, v59
	v_cndmask_b32_e32 v59, v59, v60, vcc
	v_cmp_class_f32_e32 vcc, v58, v15
	v_cndmask_b32_e32 v58, v59, v58, vcc
	v_sub_f32_e32 v59, v58, v55
	v_cmp_gt_f32_e32 vcc, 0, v59
	v_fma_f32 v58, -v57, v58, 1.0
	v_cndmask_b32_e32 v60, 0, v36, vcc
	v_fmac_f32_e32 v27, v58, v60
	v_fma_f32 v58, -v56, v59, 1.0
	v_cmp_lt_f32_e64 s[4:5], v59, v52
	v_cndmask_b32_e64 v58, v58, 1.0, vcc
	v_cndmask_b32_e64 v60, 0, 1.0, s[4:5]
	v_mul_f32_e32 v58, v60, v58
	v_mul_f32_e32 v58, v54, v58
	v_cmp_lt_f32_e64 s[4:5], v59, v7
	v_cndmask_b32_e64 v58, v58, -|v58|, s[28:29]
	s_and_b64 s[4:5], s[14:15], s[4:5]
	v_fmac_f32_e32 v27, 0x42340000, v58
	v_fma_f32 v58, -v53, v59, 1.0
	v_cndmask_b32_e64 v59, 0, 1.0, s[4:5]
	v_mul_f32_e32 v59, v51, v59
	v_cndmask_b32_e64 v58, v58, 1.0, vcc
	v_fmac_f32_e32 v27, v58, v59
	buffer_load_dword v58, off, s[0:3], 0 offset:3860 ; 4-byte Folded Reload
	v_sub_f32_e32 v59, v9, v5
	buffer_load_dword v9, off, s[0:3], 0 offset:3868 ; 4-byte Folded Reload
	v_mul_f32_e32 v59, v59, v59
	s_waitcnt vmcnt(1)
	v_sub_f32_e32 v58, v58, v4
	v_fmac_f32_e32 v59, v58, v58
	s_waitcnt vmcnt(0)
	v_sub_f32_e32 v60, v9, v6
	buffer_load_dword v9, off, s[0:3], 0 offset:3872 ; 4-byte Folded Reload
	v_fmac_f32_e32 v59, v60, v60
	v_cmp_gt_f32_e32 vcc, s36, v59
	v_mul_f32_e32 v58, 0x4f800000, v59
	v_cndmask_b32_e32 v58, v59, v58, vcc
	v_sqrt_f32_e32 v59, v58
	v_add_u32_e32 v60, -1, v59
	v_fma_f32 v61, -v60, v59, v58
	v_cmp_ge_f32_e64 s[4:5], 0, v61
	v_add_u32_e32 v61, 1, v59
	v_cndmask_b32_e64 v60, v59, v60, s[4:5]
	v_fma_f32 v59, -v61, v59, v58
	v_cmp_lt_f32_e64 s[4:5], 0, v59
	v_cndmask_b32_e64 v59, v60, v61, s[4:5]
	v_mul_f32_e32 v60, 0x37800000, v59
	v_cndmask_b32_e32 v59, v59, v60, vcc
	v_cmp_class_f32_e32 vcc, v58, v15
	v_cndmask_b32_e32 v58, v59, v58, vcc
	v_sub_f32_e32 v59, v58, v55
	v_cmp_gt_f32_e32 vcc, 0, v59
	v_fma_f32 v58, -v57, v58, 1.0
	v_cndmask_b32_e32 v60, 0, v36, vcc
	v_fmac_f32_e32 v30, v58, v60
	v_fma_f32 v58, -v56, v59, 1.0
	v_cmp_lt_f32_e64 s[4:5], v59, v52
	v_cndmask_b32_e64 v58, v58, 1.0, vcc
	v_cndmask_b32_e64 v60, 0, 1.0, s[4:5]
	v_mul_f32_e32 v58, v60, v58
	v_mul_f32_e32 v58, v54, v58
	v_cmp_lt_f32_e64 s[4:5], v59, v7
	v_cndmask_b32_e64 v58, v58, -|v58|, s[28:29]
	s_and_b64 s[4:5], s[14:15], s[4:5]
	v_fmac_f32_e32 v30, 0x42340000, v58
	v_fma_f32 v58, -v53, v59, 1.0
	v_cndmask_b32_e64 v59, 0, 1.0, s[4:5]
	v_mul_f32_e32 v59, v51, v59
	v_cndmask_b32_e64 v58, v58, 1.0, vcc
	v_fmac_f32_e32 v30, v58, v59
	s_waitcnt vmcnt(0)
	v_sub_f32_e32 v58, v9, v4
	buffer_load_dword v4, off, s[0:3], 0 offset:3876 ; 4-byte Folded Reload
	v_mov_b32_e32 v9, v29
	s_waitcnt vmcnt(0)
	v_sub_f32_e32 v4, v4, v5
	buffer_load_dword v5, off, s[0:3], 0 offset:3880 ; 4-byte Folded Reload
	v_mul_f32_e32 v4, v4, v4
	v_fmac_f32_e32 v4, v58, v58
	s_waitcnt vmcnt(0)
	v_sub_f32_e32 v5, v5, v6
	v_fmac_f32_e32 v4, v5, v5
	v_cmp_gt_f32_e32 vcc, s36, v4
	v_mul_f32_e32 v5, 0x4f800000, v4
	v_cndmask_b32_e32 v4, v4, v5, vcc
	v_sqrt_f32_e32 v5, v4
	v_add_u32_e32 v6, -1, v5
	v_fma_f32 v58, -v6, v5, v4
	v_cmp_ge_f32_e64 s[4:5], 0, v58
	v_add_u32_e32 v58, 1, v5
	v_cndmask_b32_e64 v6, v5, v6, s[4:5]
	v_fma_f32 v5, -v58, v5, v4
	v_cmp_lt_f32_e64 s[4:5], 0, v5
	v_cndmask_b32_e64 v5, v6, v58, s[4:5]
	v_mul_f32_e32 v6, 0x37800000, v5
	v_cndmask_b32_e32 v5, v5, v6, vcc
	v_cmp_class_f32_e32 vcc, v4, v15
	v_cndmask_b32_e32 v5, v5, v4, vcc
	v_sub_f32_e32 v4, v5, v55
	v_cmp_gt_f32_e32 vcc, 0, v4
	v_fma_f32 v5, -v57, v5, 1.0
	v_cndmask_b32_e32 v6, 0, v36, vcc
	v_fmac_f32_e32 v9, v5, v6
	v_fma_f32 v5, -v56, v4, 1.0
	v_cmp_lt_f32_e64 s[4:5], v4, v52
	v_cndmask_b32_e64 v5, v5, 1.0, vcc
	v_cndmask_b32_e64 v6, 0, 1.0, s[4:5]
	v_mul_f32_e32 v5, v6, v5
	v_mul_f32_e32 v5, v54, v5
	v_cmp_lt_f32_e64 s[4:5], v4, v7
	v_cndmask_b32_e64 v5, v5, -|v5|, s[28:29]
	s_and_b64 s[4:5], s[14:15], s[4:5]
	v_fmac_f32_e32 v9, 0x42340000, v5
	v_fma_f32 v5, -v53, v4, 1.0
	v_cndmask_b32_e64 v4, 0, 1.0, s[4:5]
	s_add_u32 s26, s26, 16
	v_mul_f32_e32 v4, v51, v4
	v_cndmask_b32_e64 v5, v5, 1.0, vcc
	s_addc_u32 s27, s27, 0
	s_add_i32 s37, s37, -1
	v_mov_b32_e32 v51, 0
	v_fmac_f32_e32 v9, v5, v4
	s_cmp_lg_u32 s37, 0
	s_cbranch_scc1 .LBB6_28
; %bb.29:                               ;   in Loop: Header=BB6_27 Depth=1
	buffer_load_dword v4, off, s[0:3], 0 offset:3412 ; 4-byte Folded Reload
	s_add_i32 s24, s24, 1
	s_cmp_lg_u32 s24, s33
	v_mov_b32_e32 v7, v18
	v_mov_b32_e32 v5, v17
	;; [unrolled: 1-line block ×3, first 2 shown]
	s_waitcnt vmcnt(0)
	buffer_store_dword v4, off, s[0:3], 0 offset:100
	buffer_load_dword v4, off, s[0:3], 0 offset:3408 ; 4-byte Folded Reload
	s_waitcnt vmcnt(0)
	buffer_store_dword v4, off, s[0:3], 0 offset:104
	buffer_load_dword v4, off, s[0:3], 0 offset:3404 ; 4-byte Folded Reload
	;; [unrolled: 3-line block ×3, first 2 shown]
	s_waitcnt vmcnt(0)
	buffer_store_dword v4, off, s[0:3], 0 offset:112
	buffer_store_dword v28, off, s[0:3], 0 offset:16
	;; [unrolled: 1-line block ×22, first 2 shown]
	buffer_load_dword v4, off, s[0:3], 0 offset:3396 ; 4-byte Folded Reload
	v_mov_b32_e32 v18, v20
	s_waitcnt vmcnt(0)
	buffer_store_dword v4, off, s[0:3], 0 offset:116
	buffer_load_dword v4, off, s[0:3], 0 offset:3392 ; 4-byte Folded Reload
	s_waitcnt vmcnt(0)
	buffer_store_dword v4, off, s[0:3], 0 offset:120
	buffer_load_dword v4, off, s[0:3], 0 offset:3388 ; 4-byte Folded Reload
	;; [unrolled: 3-line block ×13, first 2 shown]
	s_waitcnt vmcnt(0)
	buffer_store_dword v4, off, s[0:3], 0 offset:168
	buffer_store_dword v49, off, s[0:3], 0 offset:172
	;; [unrolled: 1-line block ×25, first 2 shown]
	v_mov_b32_e32 v0, v13
	v_swap_b32 v13, v14
	buffer_store_dword v9, off, s[0:3], 0 offset:268
	v_mov_b32_e32 v9, v19
	v_mov_b32_e32 v4, v16
	s_cbranch_scc1 .LBB6_27
; %bb.30:
	s_and_saveexec_b64 s[4:5], s[16:17]
	s_cbranch_execz .LBB6_32
; %bb.31:
	s_mov_b32 s4, 0x54800
	buffer_load_dword v16, off, s[0:3], s4  ; 4-byte Folded Reload
	buffer_load_dword v17, off, s[0:3], s4 offset:4 ; 4-byte Folded Reload
	s_waitcnt vmcnt(0)
	v_mov_b32_e32 v17, 0
	v_mov_b32_e32 v3, s21
	v_mul_f32_e32 v2, 0.5, v28
	buffer_load_dword v15, off, s[0:3], 0 offset:204
	v_lshlrev_b64 v[0:1], 2, v[16:17]
	v_add_u32_e32 v16, s30, v16
	v_add_co_u32_e32 v0, vcc, s20, v0
	v_addc_co_u32_e32 v1, vcc, v3, v1, vcc
	global_store_dword v[0:1], v2, off
	v_lshlrev_b64 v[0:1], 2, v[16:17]
	v_mul_f32_e32 v2, 0.5, v26
	v_add_co_u32_e32 v0, vcc, s20, v0
	v_addc_co_u32_e32 v1, vcc, v3, v1, vcc
	v_add_u32_e32 v16, s30, v16
	global_store_dword v[0:1], v2, off
	v_lshlrev_b64 v[0:1], 2, v[16:17]
	v_mul_f32_e32 v2, 0.5, v25
	v_add_co_u32_e32 v0, vcc, s20, v0
	v_addc_co_u32_e32 v1, vcc, v3, v1, vcc
	v_add_u32_e32 v16, s30, v16
	;; [unrolled: 6-line block ×11, first 2 shown]
	global_store_dword v[0:1], v2, off
	v_lshlrev_b64 v[0:1], 2, v[16:17]
	v_mul_f32_e32 v2, 0.5, v7
	v_add_co_u32_e32 v0, vcc, s20, v0
	v_addc_co_u32_e32 v1, vcc, v3, v1, vcc
	global_store_dword v[0:1], v2, off
	buffer_load_dword v0, off, s[0:3], 0 offset:100
	v_add_u32_e32 v16, s30, v16
	v_lshlrev_b64 v[1:2], 2, v[16:17]
	v_mov_b32_e32 v4, s21
	v_add_co_u32_e32 v1, vcc, s20, v1
	v_mul_f32_e32 v3, 0.5, v9
	v_addc_co_u32_e32 v2, vcc, v4, v2, vcc
	global_store_dword v[1:2], v3, off
	buffer_load_dword v1, off, s[0:3], 0 offset:104
	v_add_u32_e32 v16, s30, v16
	v_lshlrev_b64 v[2:3], 2, v[16:17]
	v_mov_b32_e32 v5, s21
	v_add_co_u32_e32 v2, vcc, s20, v2
	v_mul_f32_e32 v4, 0.5, v21
	v_addc_co_u32_e32 v3, vcc, v5, v3, vcc
	v_add_u32_e32 v16, s30, v16
	global_store_dword v[2:3], v4, off
	buffer_load_dword v2, off, s[0:3], 0 offset:108
	v_lshlrev_b64 v[3:4], 2, v[16:17]
	v_mov_b32_e32 v6, s21
	v_add_co_u32_e32 v3, vcc, s20, v3
	v_mul_f32_e32 v5, 0.5, v22
	v_addc_co_u32_e32 v4, vcc, v6, v4, vcc
	global_store_dword v[3:4], v5, off
	buffer_load_dword v3, off, s[0:3], 0 offset:112
	v_add_u32_e32 v16, s30, v16
	v_lshlrev_b64 v[4:5], 2, v[16:17]
	v_mov_b32_e32 v7, s21
	v_add_co_u32_e32 v4, vcc, s20, v4
	v_mul_f32_e32 v6, 0.5, v13
	v_addc_co_u32_e32 v5, vcc, v7, v5, vcc
	v_add_u32_e32 v16, s30, v16
	global_store_dword v[4:5], v6, off
	buffer_load_dword v4, off, s[0:3], 0 offset:116
	;; [unrolled: 16-line block ×3, first 2 shown]
	v_lshlrev_b64 v[7:8], 2, v[16:17]
	v_mov_b32_e32 v10, s21
	v_add_co_u32_e32 v7, vcc, s20, v7
	v_mul_f32_e32 v9, 0.5, v63
	v_addc_co_u32_e32 v8, vcc, v10, v8, vcc
	v_add_u32_e32 v16, s30, v16
	global_store_dword v[7:8], v9, off
	buffer_load_dword v7, off, s[0:3], 0 offset:128
	v_lshlrev_b64 v[8:9], 2, v[16:17]
	v_mov_b32_e32 v11, s21
	v_add_co_u32_e32 v8, vcc, s20, v8
	v_mul_f32_e32 v10, 0.5, v62
	v_addc_co_u32_e32 v9, vcc, v11, v9, vcc
	v_add_u32_e32 v16, s30, v16
	global_store_dword v[8:9], v10, off
	buffer_load_dword v8, off, s[0:3], 0 offset:132
	v_lshlrev_b64 v[9:10], 2, v[16:17]
	s_waitcnt vmcnt(16)
	v_mul_f32_e32 v0, 0.5, v0
	v_add_co_u32_e32 v9, vcc, s20, v9
	v_addc_co_u32_e32 v10, vcc, v11, v10, vcc
	global_store_dword v[9:10], v0, off
	buffer_load_dword v9, off, s[0:3], 0 offset:136
	v_add_u32_e32 v16, s30, v16
	s_waitcnt vmcnt(16)
	v_mul_f32_e32 v10, 0.5, v1
	v_lshlrev_b64 v[0:1], 2, v[16:17]
	v_add_u32_e32 v16, s30, v16
	v_add_co_u32_e32 v0, vcc, s20, v0
	v_addc_co_u32_e32 v1, vcc, v11, v1, vcc
	global_store_dword v[0:1], v10, off
	v_lshlrev_b64 v[0:1], 2, v[16:17]
	buffer_load_dword v10, off, s[0:3], 0 offset:140
	v_add_co_u32_e32 v0, vcc, s20, v0
	s_waitcnt vmcnt(16)
	v_mul_f32_e32 v2, 0.5, v2
	v_addc_co_u32_e32 v1, vcc, v11, v1, vcc
	v_add_u32_e32 v16, s30, v16
	global_store_dword v[0:1], v2, off
	v_lshlrev_b64 v[1:2], 2, v[16:17]
	buffer_load_dword v0, off, s[0:3], 0 offset:144
	v_add_co_u32_e32 v1, vcc, s20, v1
	s_waitcnt vmcnt(16)
	v_mul_f32_e32 v3, 0.5, v3
	v_addc_co_u32_e32 v2, vcc, v11, v2, vcc
	global_store_dword v[1:2], v3, off
	buffer_load_dword v1, off, s[0:3], 0 offset:148
	v_add_u32_e32 v16, s30, v16
	v_lshlrev_b64 v[2:3], 2, v[16:17]
	v_add_u32_e32 v16, s30, v16
	v_add_co_u32_e32 v2, vcc, s20, v2
	s_waitcnt vmcnt(16)
	v_mul_f32_e32 v4, 0.5, v4
	v_addc_co_u32_e32 v3, vcc, v11, v3, vcc
	global_store_dword v[2:3], v4, off
	v_lshlrev_b64 v[3:4], 2, v[16:17]
	buffer_load_dword v2, off, s[0:3], 0 offset:152
	v_add_co_u32_e32 v3, vcc, s20, v3
	s_waitcnt vmcnt(16)
	v_mul_f32_e32 v5, 0.5, v5
	v_addc_co_u32_e32 v4, vcc, v11, v4, vcc
	global_store_dword v[3:4], v5, off
	buffer_load_dword v3, off, s[0:3], 0 offset:156
	v_add_u32_e32 v16, s30, v16
	v_lshlrev_b64 v[4:5], 2, v[16:17]
	v_add_u32_e32 v16, s30, v16
	v_add_co_u32_e32 v4, vcc, s20, v4
	v_addc_co_u32_e32 v5, vcc, v11, v5, vcc
	s_waitcnt vmcnt(16)
	v_mul_f32_e32 v6, 0.5, v6
	global_store_dword v[4:5], v6, off
	buffer_load_dword v4, off, s[0:3], 0 offset:160
	v_lshlrev_b64 v[5:6], 2, v[16:17]
	v_add_u32_e32 v16, s30, v16
	v_add_co_u32_e32 v5, vcc, s20, v5
	v_addc_co_u32_e32 v6, vcc, v11, v6, vcc
	s_waitcnt vmcnt(16)
	v_mul_f32_e32 v7, 0.5, v7
	global_store_dword v[5:6], v7, off
	buffer_load_dword v5, off, s[0:3], 0 offset:164
	v_lshlrev_b64 v[6:7], 2, v[16:17]
	v_add_u32_e32 v16, s30, v16
	v_add_co_u32_e32 v6, vcc, s20, v6
	v_addc_co_u32_e32 v7, vcc, v11, v7, vcc
	buffer_load_dword v12, off, s[0:3], 0 offset:192
	s_waitcnt vmcnt(17)
	v_mul_f32_e32 v8, 0.5, v8
	global_store_dword v[6:7], v8, off
	buffer_load_dword v6, off, s[0:3], 0 offset:168
	v_lshlrev_b64 v[7:8], 2, v[16:17]
	v_add_u32_e32 v16, s30, v16
	v_add_co_u32_e32 v7, vcc, s20, v7
	v_addc_co_u32_e32 v8, vcc, v11, v8, vcc
	s_waitcnt vmcnt(17)
	v_mul_f32_e32 v9, 0.5, v9
	global_store_dword v[7:8], v9, off
	buffer_load_dword v7, off, s[0:3], 0 offset:172
	v_lshlrev_b64 v[8:9], 2, v[16:17]
	v_add_u32_e32 v16, s30, v16
	v_add_co_u32_e32 v8, vcc, s20, v8
	v_addc_co_u32_e32 v9, vcc, v11, v9, vcc
	buffer_load_dword v13, off, s[0:3], 0 offset:196
	buffer_load_dword v14, off, s[0:3], 0 offset:200
	s_waitcnt vmcnt(19)
	v_mul_f32_e32 v10, 0.5, v10
	global_store_dword v[8:9], v10, off
	buffer_load_dword v8, off, s[0:3], 0 offset:176
	v_lshlrev_b64 v[9:10], 2, v[16:17]
	v_add_u32_e32 v16, s30, v16
	v_add_co_u32_e32 v9, vcc, s20, v9
	v_addc_co_u32_e32 v10, vcc, v11, v10, vcc
	s_waitcnt vmcnt(19)
	v_mul_f32_e32 v0, 0.5, v0
	global_store_dword v[9:10], v0, off
	buffer_load_dword v9, off, s[0:3], 0 offset:180
	s_waitcnt vmcnt(19)
	v_mul_f32_e32 v10, 0.5, v1
	v_lshlrev_b64 v[0:1], 2, v[16:17]
	v_add_u32_e32 v16, s30, v16
	v_add_co_u32_e32 v0, vcc, s20, v0
	v_addc_co_u32_e32 v1, vcc, v11, v1, vcc
	global_store_dword v[0:1], v10, off
	buffer_load_dword v10, off, s[0:3], 0 offset:184
	v_lshlrev_b64 v[0:1], 2, v[16:17]
	v_add_u32_e32 v16, s30, v16
	v_add_co_u32_e32 v0, vcc, s20, v0
	v_addc_co_u32_e32 v1, vcc, v11, v1, vcc
	buffer_load_dword v11, off, s[0:3], 0 offset:188
	s_waitcnt vmcnt(20)
	v_mul_f32_e32 v2, 0.5, v2
	global_store_dword v[0:1], v2, off
	v_lshlrev_b64 v[0:1], 2, v[16:17]
	s_waitcnt vmcnt(19)
	v_mul_f32_e32 v2, 0.5, v3
	v_mov_b32_e32 v3, s21
	v_add_co_u32_e32 v0, vcc, s20, v0
	v_addc_co_u32_e32 v1, vcc, v3, v1, vcc
	v_add_u32_e32 v16, s30, v16
	global_store_dword v[0:1], v2, off
	v_lshlrev_b64 v[0:1], 2, v[16:17]
	s_waitcnt vmcnt(18)
	v_mul_f32_e32 v2, 0.5, v4
	v_add_co_u32_e32 v0, vcc, s20, v0
	v_addc_co_u32_e32 v1, vcc, v3, v1, vcc
	v_add_u32_e32 v16, s30, v16
	global_store_dword v[0:1], v2, off
	v_lshlrev_b64 v[0:1], 2, v[16:17]
	v_add_u32_e32 v16, s30, v16
	v_add_co_u32_e32 v0, vcc, s20, v0
	s_waitcnt vmcnt(17)
	v_mul_f32_e32 v2, 0.5, v5
	v_addc_co_u32_e32 v1, vcc, v3, v1, vcc
	global_store_dword v[0:1], v2, off
	v_lshlrev_b64 v[0:1], 2, v[16:17]
	v_add_u32_e32 v16, s30, v16
	v_add_co_u32_e32 v0, vcc, s20, v0
	s_waitcnt vmcnt(15)
	v_mul_f32_e32 v2, 0.5, v6
	v_addc_co_u32_e32 v1, vcc, v3, v1, vcc
	global_store_dword v[0:1], v2, off
	v_lshlrev_b64 v[0:1], 2, v[16:17]
	v_add_u32_e32 v16, s30, v16
	v_add_co_u32_e32 v0, vcc, s20, v0
	v_addc_co_u32_e32 v1, vcc, v3, v1, vcc
	s_waitcnt vmcnt(14)
	v_mul_f32_e32 v2, 0.5, v7
	global_store_dword v[0:1], v2, off
	buffer_load_dword v0, off, s[0:3], 0 offset:208
	v_lshlrev_b64 v[1:2], 2, v[16:17]
	v_mov_b32_e32 v4, s21
	v_add_co_u32_e32 v1, vcc, s20, v1
	v_addc_co_u32_e32 v2, vcc, v4, v2, vcc
	v_add_u32_e32 v16, s30, v16
	s_waitcnt vmcnt(12)
	v_mul_f32_e32 v3, 0.5, v8
	global_store_dword v[1:2], v3, off
	v_lshlrev_b64 v[2:3], 2, v[16:17]
	v_mov_b32_e32 v5, s21
	v_add_co_u32_e32 v2, vcc, s20, v2
	buffer_load_dword v1, off, s[0:3], 0 offset:212
	v_addc_co_u32_e32 v3, vcc, v5, v3, vcc
	s_waitcnt vmcnt(12)
	v_mul_f32_e32 v4, 0.5, v9
	global_store_dword v[2:3], v4, off
	buffer_load_dword v2, off, s[0:3], 0 offset:216
	v_add_u32_e32 v16, s30, v16
	v_lshlrev_b64 v[3:4], 2, v[16:17]
	v_mov_b32_e32 v6, s21
	v_add_co_u32_e32 v3, vcc, s20, v3
	v_addc_co_u32_e32 v4, vcc, v6, v4, vcc
	v_add_u32_e32 v16, s30, v16
	v_mov_b32_e32 v7, s21
	s_waitcnt vmcnt(12)
	v_mul_f32_e32 v5, 0.5, v10
	global_store_dword v[3:4], v5, off
	v_lshlrev_b64 v[4:5], 2, v[16:17]
	buffer_load_dword v3, off, s[0:3], 0 offset:220
	v_add_co_u32_e32 v4, vcc, s20, v4
	v_addc_co_u32_e32 v5, vcc, v7, v5, vcc
	s_waitcnt vmcnt(13)
	v_mul_f32_e32 v6, 0.5, v11
	v_add_u32_e32 v16, s30, v16
	global_store_dword v[4:5], v6, off
	buffer_load_dword v4, off, s[0:3], 0 offset:224
	v_lshlrev_b64 v[5:6], 2, v[16:17]
	v_mov_b32_e32 v8, s21
	v_add_co_u32_e32 v5, vcc, s20, v5
	v_mul_f32_e32 v7, 0.5, v12
	v_addc_co_u32_e32 v6, vcc, v8, v6, vcc
	global_store_dword v[5:6], v7, off
	buffer_load_dword v5, off, s[0:3], 0 offset:228
	v_add_u32_e32 v16, s30, v16
	v_lshlrev_b64 v[6:7], 2, v[16:17]
	v_mov_b32_e32 v9, s21
	v_add_co_u32_e32 v6, vcc, s20, v6
	v_mul_f32_e32 v8, 0.5, v13
	v_addc_co_u32_e32 v7, vcc, v9, v7, vcc
	v_add_u32_e32 v16, s30, v16
	global_store_dword v[6:7], v8, off
	v_lshlrev_b64 v[7:8], 2, v[16:17]
	buffer_load_dword v6, off, s[0:3], 0 offset:232
	buffer_load_dword v12, off, s[0:3], 0 offset:248
	v_mov_b32_e32 v10, s21
	v_add_co_u32_e32 v7, vcc, s20, v7
	v_mul_f32_e32 v9, 0.5, v14
	v_addc_co_u32_e32 v8, vcc, v10, v8, vcc
	v_add_u32_e32 v16, s30, v16
	global_store_dword v[7:8], v9, off
	v_lshlrev_b64 v[8:9], 2, v[16:17]
	buffer_load_dword v7, off, s[0:3], 0 offset:236
	v_mov_b32_e32 v11, s21
	v_add_co_u32_e32 v8, vcc, s20, v8
	v_mul_f32_e32 v10, 0.5, v15
	v_addc_co_u32_e32 v9, vcc, v11, v9, vcc
	v_add_u32_e32 v16, s30, v16
	global_store_dword v[8:9], v10, off
	v_lshlrev_b64 v[9:10], 2, v[16:17]
	buffer_load_dword v8, off, s[0:3], 0 offset:240
	s_waitcnt vmcnt(17)
	v_mul_f32_e32 v11, 0.5, v0
	v_mov_b32_e32 v0, s21
	v_add_co_u32_e32 v9, vcc, s20, v9
	v_addc_co_u32_e32 v10, vcc, v0, v10, vcc
	buffer_load_dword v0, off, s[0:3], 0 offset:244
	v_add_u32_e32 v16, s30, v16
	global_store_dword v[9:10], v11, off
	v_lshlrev_b64 v[9:10], 2, v[16:17]
	v_mov_b32_e32 v11, s21
	v_add_co_u32_e32 v9, vcc, s20, v9
	s_waitcnt vmcnt(17)
	v_mul_f32_e32 v1, 0.5, v1
	v_addc_co_u32_e32 v10, vcc, v11, v10, vcc
	v_add_u32_e32 v16, s30, v16
	buffer_load_dword v11, off, s[0:3], 0 offset:252
	s_waitcnt vmcnt(14)
	v_mul_f32_e32 v3, 0.5, v3
	global_store_dword v[9:10], v1, off
	v_mul_f32_e32 v9, 0.5, v2
	v_lshlrev_b64 v[1:2], 2, v[16:17]
	v_mov_b32_e32 v10, s21
	v_add_co_u32_e32 v1, vcc, s20, v1
	v_addc_co_u32_e32 v2, vcc, v10, v2, vcc
	v_add_u32_e32 v16, s30, v16
	buffer_load_dword v10, off, s[0:3], 0 offset:256
	s_nop 0
	global_store_dword v[1:2], v9, off
	v_lshlrev_b64 v[1:2], 2, v[16:17]
	v_mov_b32_e32 v9, s21
	v_add_co_u32_e32 v1, vcc, s20, v1
	v_addc_co_u32_e32 v2, vcc, v9, v2, vcc
	v_add_u32_e32 v16, s30, v16
	buffer_load_dword v9, off, s[0:3], 0 offset:260
	s_nop 0
	global_store_dword v[1:2], v3, off
	v_lshlrev_b64 v[1:2], 2, v[16:17]
	s_waitcnt vmcnt(17)
	v_mul_f32_e32 v3, 0.5, v4
	v_mov_b32_e32 v4, s21
	v_add_co_u32_e32 v1, vcc, s20, v1
	v_addc_co_u32_e32 v2, vcc, v4, v2, vcc
	v_add_u32_e32 v16, s30, v16
	buffer_load_dword v4, off, s[0:3], 0 offset:264
	s_nop 0
	global_store_dword v[1:2], v3, off
	v_lshlrev_b64 v[1:2], 2, v[16:17]
	s_waitcnt vmcnt(17)
	v_mul_f32_e32 v3, 0.5, v5
	v_mov_b32_e32 v5, s21
	v_add_co_u32_e32 v1, vcc, s20, v1
	v_addc_co_u32_e32 v2, vcc, v5, v2, vcc
	buffer_load_dword v5, off, s[0:3], 0 offset:268
	v_add_u32_e32 v16, s30, v16
	global_store_dword v[1:2], v3, off
	v_lshlrev_b64 v[1:2], 2, v[16:17]
	s_waitcnt vmcnt(17)
	v_mul_f32_e32 v3, 0.5, v6
	v_mov_b32_e32 v6, s21
	v_add_co_u32_e32 v1, vcc, s20, v1
	v_addc_co_u32_e32 v2, vcc, v6, v2, vcc
	v_add_u32_e32 v16, s30, v16
	global_store_dword v[1:2], v3, off
	v_lshlrev_b64 v[1:2], 2, v[16:17]
	s_waitcnt vmcnt(15)
	v_mul_f32_e32 v3, 0.5, v7
	v_add_co_u32_e32 v1, vcc, s20, v1
	v_addc_co_u32_e32 v2, vcc, v6, v2, vcc
	v_add_u32_e32 v16, s30, v16
	global_store_dword v[1:2], v3, off
	v_lshlrev_b64 v[1:2], 2, v[16:17]
	s_waitcnt vmcnt(14)
	v_mul_f32_e32 v3, 0.5, v8
	v_add_co_u32_e32 v1, vcc, s20, v1
	v_addc_co_u32_e32 v2, vcc, v6, v2, vcc
	v_add_u32_e32 v16, s30, v16
	global_store_dword v[1:2], v3, off
	s_waitcnt vmcnt(14)
	v_mul_f32_e32 v2, 0.5, v0
	v_lshlrev_b64 v[0:1], 2, v[16:17]
	v_mov_b32_e32 v3, s21
	v_add_co_u32_e32 v0, vcc, s20, v0
	v_addc_co_u32_e32 v1, vcc, v3, v1, vcc
	v_add_u32_e32 v16, s30, v16
	global_store_dword v[0:1], v2, off
	v_lshlrev_b64 v[0:1], 2, v[16:17]
	v_mul_f32_e32 v2, 0.5, v12
	v_add_co_u32_e32 v0, vcc, s20, v0
	v_addc_co_u32_e32 v1, vcc, v3, v1, vcc
	v_add_u32_e32 v16, s30, v16
	global_store_dword v[0:1], v2, off
	v_lshlrev_b64 v[0:1], 2, v[16:17]
	s_waitcnt vmcnt(14)
	v_mul_f32_e32 v2, 0.5, v11
	v_add_co_u32_e32 v0, vcc, s20, v0
	v_addc_co_u32_e32 v1, vcc, v3, v1, vcc
	v_add_u32_e32 v16, s30, v16
	global_store_dword v[0:1], v2, off
	v_lshlrev_b64 v[0:1], 2, v[16:17]
	s_waitcnt vmcnt(13)
	;; [unrolled: 7-line block ×4, first 2 shown]
	v_mul_f32_e32 v2, 0.5, v4
	v_add_co_u32_e32 v0, vcc, s20, v0
	v_addc_co_u32_e32 v1, vcc, v3, v1, vcc
	v_add_u32_e32 v16, s30, v16
	global_store_dword v[0:1], v2, off
	v_lshlrev_b64 v[0:1], 2, v[16:17]
	v_add_co_u32_e32 v0, vcc, s20, v0
	s_waitcnt vmcnt(10)
	v_mul_f32_e32 v2, 0.5, v5
	v_addc_co_u32_e32 v1, vcc, v3, v1, vcc
	global_store_dword v[0:1], v2, off
.LBB6_32:
	s_endpgm
	.section	.rodata,"a",@progbits
	.p2align	6, 0x0
	.amdhsa_kernel _ZL11fasten_mainILm64EEviiPK4AtomS2_PKfS4_S4_S4_S4_S4_PfPK8FFParamsi
		.amdhsa_group_segment_fixed_size 0
		.amdhsa_private_segment_fixed_size 5424
		.amdhsa_kernarg_size 352
		.amdhsa_user_sgpr_count 6
		.amdhsa_user_sgpr_private_segment_buffer 1
		.amdhsa_user_sgpr_dispatch_ptr 0
		.amdhsa_user_sgpr_queue_ptr 0
		.amdhsa_user_sgpr_kernarg_segment_ptr 1
		.amdhsa_user_sgpr_dispatch_id 0
		.amdhsa_user_sgpr_flat_scratch_init 0
		.amdhsa_user_sgpr_private_segment_size 0
		.amdhsa_uses_dynamic_stack 0
		.amdhsa_system_sgpr_private_segment_wavefront_offset 1
		.amdhsa_system_sgpr_workgroup_id_x 1
		.amdhsa_system_sgpr_workgroup_id_y 0
		.amdhsa_system_sgpr_workgroup_id_z 0
		.amdhsa_system_sgpr_workgroup_info 0
		.amdhsa_system_vgpr_workitem_id 0
		.amdhsa_next_free_vgpr 64
		.amdhsa_next_free_sgpr 52
		.amdhsa_reserve_vcc 1
		.amdhsa_reserve_flat_scratch 0
		.amdhsa_float_round_mode_32 0
		.amdhsa_float_round_mode_16_64 0
		.amdhsa_float_denorm_mode_32 3
		.amdhsa_float_denorm_mode_16_64 3
		.amdhsa_dx10_clamp 1
		.amdhsa_ieee_mode 1
		.amdhsa_fp16_overflow 0
		.amdhsa_exception_fp_ieee_invalid_op 0
		.amdhsa_exception_fp_denorm_src 0
		.amdhsa_exception_fp_ieee_div_zero 0
		.amdhsa_exception_fp_ieee_overflow 0
		.amdhsa_exception_fp_ieee_underflow 0
		.amdhsa_exception_fp_ieee_inexact 0
		.amdhsa_exception_int_div_zero 0
	.end_amdhsa_kernel
	.section	.text._ZL11fasten_mainILm64EEviiPK4AtomS2_PKfS4_S4_S4_S4_S4_PfPK8FFParamsi,"axG",@progbits,_ZL11fasten_mainILm64EEviiPK4AtomS2_PKfS4_S4_S4_S4_S4_PfPK8FFParamsi,comdat
.Lfunc_end6:
	.size	_ZL11fasten_mainILm64EEviiPK4AtomS2_PKfS4_S4_S4_S4_S4_PfPK8FFParamsi, .Lfunc_end6-_ZL11fasten_mainILm64EEviiPK4AtomS2_PKfS4_S4_S4_S4_S4_PfPK8FFParamsi
                                        ; -- End function
	.set _ZL11fasten_mainILm64EEviiPK4AtomS2_PKfS4_S4_S4_S4_S4_PfPK8FFParamsi.num_vgpr, 64
	.set _ZL11fasten_mainILm64EEviiPK4AtomS2_PKfS4_S4_S4_S4_S4_PfPK8FFParamsi.num_agpr, 0
	.set _ZL11fasten_mainILm64EEviiPK4AtomS2_PKfS4_S4_S4_S4_S4_PfPK8FFParamsi.numbered_sgpr, 52
	.set _ZL11fasten_mainILm64EEviiPK4AtomS2_PKfS4_S4_S4_S4_S4_PfPK8FFParamsi.num_named_barrier, 0
	.set _ZL11fasten_mainILm64EEviiPK4AtomS2_PKfS4_S4_S4_S4_S4_PfPK8FFParamsi.private_seg_size, 5424
	.set _ZL11fasten_mainILm64EEviiPK4AtomS2_PKfS4_S4_S4_S4_S4_PfPK8FFParamsi.uses_vcc, 1
	.set _ZL11fasten_mainILm64EEviiPK4AtomS2_PKfS4_S4_S4_S4_S4_PfPK8FFParamsi.uses_flat_scratch, 0
	.set _ZL11fasten_mainILm64EEviiPK4AtomS2_PKfS4_S4_S4_S4_S4_PfPK8FFParamsi.has_dyn_sized_stack, 0
	.set _ZL11fasten_mainILm64EEviiPK4AtomS2_PKfS4_S4_S4_S4_S4_PfPK8FFParamsi.has_recursion, 0
	.set _ZL11fasten_mainILm64EEviiPK4AtomS2_PKfS4_S4_S4_S4_S4_PfPK8FFParamsi.has_indirect_call, 0
	.section	.AMDGPU.csdata,"",@progbits
; Kernel info:
; codeLenInByte = 51900
; TotalNumSgprs: 56
; NumVgprs: 64
; ScratchSize: 5424
; MemoryBound: 0
; FloatMode: 240
; IeeeMode: 1
; LDSByteSize: 0 bytes/workgroup (compile time only)
; SGPRBlocks: 6
; VGPRBlocks: 15
; NumSGPRsForWavesPerEU: 56
; NumVGPRsForWavesPerEU: 64
; Occupancy: 4
; WaveLimiterHint : 1
; COMPUTE_PGM_RSRC2:SCRATCH_EN: 1
; COMPUTE_PGM_RSRC2:USER_SGPR: 6
; COMPUTE_PGM_RSRC2:TRAP_HANDLER: 0
; COMPUTE_PGM_RSRC2:TGID_X_EN: 1
; COMPUTE_PGM_RSRC2:TGID_Y_EN: 0
; COMPUTE_PGM_RSRC2:TGID_Z_EN: 0
; COMPUTE_PGM_RSRC2:TIDIG_COMP_CNT: 0
	.section	.text._ZL11fasten_mainILm128EEviiPK4AtomS2_PKfS4_S4_S4_S4_S4_PfPK8FFParamsi,"axG",@progbits,_ZL11fasten_mainILm128EEviiPK4AtomS2_PKfS4_S4_S4_S4_S4_PfPK8FFParamsi,comdat
	.globl	_ZL11fasten_mainILm128EEviiPK4AtomS2_PKfS4_S4_S4_S4_S4_PfPK8FFParamsi ; -- Begin function _ZL11fasten_mainILm128EEviiPK4AtomS2_PKfS4_S4_S4_S4_S4_PfPK8FFParamsi
	.p2align	8
	.type	_ZL11fasten_mainILm128EEviiPK4AtomS2_PKfS4_S4_S4_S4_S4_PfPK8FFParamsi,@function
_ZL11fasten_mainILm128EEviiPK4AtomS2_PKfS4_S4_S4_S4_S4_PfPK8FFParamsi: ; @_ZL11fasten_mainILm128EEviiPK4AtomS2_PKfS4_S4_S4_S4_S4_PfPK8FFParamsi
; %bb.0:
	s_add_u32 s0, s0, s7
	s_load_dword s7, s[4:5], 0x6c
	s_load_dword s8, s[4:5], 0x58
	s_load_dwordx16 s[36:51], s[4:5], 0x8
	s_addc_u32 s1, s1, 0
	s_mov_b32 s19, 0
	s_waitcnt lgkmcnt(0)
	s_and_b32 s33, s7, 0xffff
	s_mul_i32 s6, s6, s33
	v_lshl_add_u32 v8, s6, 7, v0
	s_add_i32 s6, s8, 0xffffff80
	v_mov_b32_e32 v0, s6
	v_cmp_gt_i32_e64 s[6:7], s8, v8
	v_cndmask_b32_e64 v0, v0, v8, s[6:7]
	v_ashrrev_i32_e32 v1, 31, v0
	v_lshlrev_b64 v[0:1], 2, v[0:1]
	s_lshl_b32 s18, s33, 2
	s_movk_i32 s20, 0x210
	s_brev_b32 s21, 18
	s_mov_b32 s22, 0xfe5163ab
	v_mov_b32_e32 v3, 0
	s_mov_b32 s23, 0x3c439041
	s_mov_b32 s24, 0xdb629599
	s_mov_b32 s25, 0xf534ddc0
	s_mov_b32 s26, 0xfc2757d1
	s_mov_b32 s27, 0x4e441529
	s_mov_b32 s28, 0xa2f9836e
	s_mov_b32 s29, 0x3fc90fda
	s_mov_b32 s30, 0x3f22f983
	s_mov_b32 s31, 0xbfc90fda
	v_mov_b32_e32 v4, 0xbe2aaa9d
	v_mov_b32_e32 v5, 0x3d2aabf7
	;; [unrolled: 1-line block ×3, first 2 shown]
	s_movk_i32 s34, 0x1f8
	v_not_b32_e32 v7, 63
	v_not_b32_e32 v9, 31
	v_mov_b32_e32 v10, 0x7fc00000
	s_branch .LBB7_2
.LBB7_1:                                ;   in Loop: Header=BB7_2 Depth=1
	s_or_b64 exec, exec, s[8:9]
	v_mul_f32_e32 v27, v28, v28
	v_mov_b32_e32 v29, 0x3c0881c4
	v_fmac_f32_e32 v29, 0xb94c1982, v27
	v_fma_f32 v29, v27, v29, v4
	v_mul_f32_e32 v29, v27, v29
	v_fmac_f32_e32 v28, v28, v29
	v_mov_b32_e32 v29, 0xbab64f3b
	v_fmac_f32_e32 v29, 0x37d75334, v27
	v_fma_f32 v29, v27, v29, v5
	v_fma_f32 v29, v27, v29, v6
	v_fma_f32 v27, v27, v29, 1.0
	v_and_b32_e32 v29, 1, v26
	v_lshlrev_b32_e32 v26, 30, v26
	v_cmp_eq_u32_e32 vcc, 0, v29
	v_and_b32_e32 v26, 0x80000000, v26
	v_xor_b32_e32 v24, v24, v23
	v_cndmask_b32_e32 v27, v27, v28, vcc
	v_xor_b32_e32 v24, v24, v26
	v_xor_b32_e32 v24, v24, v27
	v_cmp_class_f32_e64 vcc, v23, s34
	v_cndmask_b32_e32 v23, v10, v24, vcc
	v_mul_f32_e32 v24, v22, v22
	v_mov_b32_e32 v26, 0x3c0881c4
	v_fmac_f32_e32 v26, 0xb94c1982, v24
	v_fma_f32 v26, v24, v26, v4
	v_mul_f32_e32 v26, v24, v26
	v_fmac_f32_e32 v22, v22, v26
	v_mov_b32_e32 v26, 0xbab64f3b
	v_fmac_f32_e32 v26, 0x37d75334, v24
	v_fma_f32 v26, v24, v26, v5
	v_fma_f32 v26, v24, v26, v6
	v_fma_f32 v24, v24, v26, 1.0
	v_and_b32_e32 v26, 1, v21
	v_cmp_eq_u32_e64 s[8:9], 0, v26
	v_lshlrev_b32_e32 v21, 30, v21
	v_cndmask_b32_e64 v22, -v22, v24, s[8:9]
	v_and_b32_e32 v21, 0x80000000, v21
	v_xor_b32_e32 v21, v21, v22
	v_mul_f32_e32 v22, v20, v20
	v_mov_b32_e32 v24, 0x3c0881c4
	v_fmac_f32_e32 v24, 0xb94c1982, v22
	v_fma_f32 v24, v22, v24, v4
	v_mul_f32_e32 v24, v22, v24
	v_fmac_f32_e32 v20, v20, v24
	v_mov_b32_e32 v24, 0xbab64f3b
	v_fmac_f32_e32 v24, 0x37d75334, v22
	v_fma_f32 v24, v22, v24, v5
	v_fma_f32 v24, v22, v24, v6
	v_fma_f32 v22, v22, v24, 1.0
	v_and_b32_e32 v24, 1, v19
	v_lshlrev_b32_e32 v19, 30, v19
	v_cmp_class_f32_e64 s[8:9], v17, s34
	v_cmp_eq_u32_e64 s[10:11], 0, v24
	v_and_b32_e32 v19, 0x80000000, v19
	v_xor_b32_e32 v17, v18, v17
	v_cndmask_b32_e64 v20, v22, v20, s[10:11]
	v_xor_b32_e32 v17, v17, v19
	v_xor_b32_e32 v17, v17, v20
	v_cndmask_b32_e64 v21, v10, v21, s[8:9]
	v_cndmask_b32_e64 v17, v10, v17, s[8:9]
	v_mov_b32_e32 v19, s47
	v_add_co_u32_e64 v18, s[8:9], s46, v0
	v_addc_co_u32_e64 v19, s[8:9], v19, v1, s[8:9]
	v_mul_f32_e32 v20, v16, v16
	global_load_dword v22, v[18:19], off
	v_mov_b32_e32 v18, 0x3c0881c4
	v_fmac_f32_e32 v18, 0xb94c1982, v20
	v_fma_f32 v24, v20, v18, v4
	v_mov_b32_e32 v19, s49
	v_add_co_u32_e64 v18, s[8:9], s48, v0
	v_addc_co_u32_e64 v19, s[8:9], v19, v1, s[8:9]
	global_load_dword v26, v[18:19], off
	v_mov_b32_e32 v19, s51
	v_add_co_u32_e64 v18, s[8:9], s50, v0
	v_addc_co_u32_e64 v19, s[8:9], v19, v1, s[8:9]
	global_load_dword v18, v[18:19], off
	v_mov_b32_e32 v19, 0xbab64f3b
	v_fmac_f32_e32 v19, 0x37d75334, v20
	v_fma_f32 v19, v20, v19, v5
	v_fma_f32 v19, v20, v19, v6
	v_mul_f32_e32 v24, v20, v24
	v_fma_f32 v19, v20, v19, 1.0
	v_and_b32_e32 v20, 1, v15
	v_fmac_f32_e32 v16, v16, v24
	v_cmp_eq_u32_e64 s[8:9], 0, v20
	v_lshlrev_b32_e32 v15, 30, v15
	v_cndmask_b32_e64 v16, -v16, v19, s[8:9]
	v_and_b32_e32 v15, 0x80000000, v15
	v_xor_b32_e32 v15, v15, v16
	v_mul_f32_e32 v16, v14, v14
	v_mov_b32_e32 v19, 0x3c0881c4
	v_fmac_f32_e32 v19, 0xb94c1982, v16
	v_fma_f32 v19, v16, v19, v4
	v_mul_f32_e32 v19, v16, v19
	v_fmac_f32_e32 v14, v14, v19
	v_mov_b32_e32 v19, 0xbab64f3b
	v_fmac_f32_e32 v19, 0x37d75334, v16
	v_fma_f32 v19, v16, v19, v5
	v_fma_f32 v19, v16, v19, v6
	v_fma_f32 v16, v16, v19, 1.0
	v_and_b32_e32 v19, 1, v13
	v_lshlrev_b32_e32 v13, 30, v13
	v_cmp_class_f32_e64 s[8:9], v11, s34
	v_and_b32_e32 v13, 0x80000000, v13
	v_xor_b32_e32 v11, v12, v11
	v_xor_b32_e32 v11, v11, v13
	v_mul_f32_e32 v12, v25, v25
	v_mov_b32_e32 v13, 0x3c0881c4
	v_fmac_f32_e32 v13, 0xb94c1982, v12
	v_fma_f32 v13, v12, v13, v4
	v_mul_f32_e32 v13, v12, v13
	v_fmac_f32_e32 v25, v25, v13
	v_mov_b32_e32 v13, 0xbab64f3b
	v_fmac_f32_e32 v13, 0x37d75334, v12
	v_cmp_eq_u32_e64 s[10:11], 0, v19
	v_fma_f32 v13, v12, v13, v5
	v_cndmask_b32_e64 v14, v16, v14, s[10:11]
	v_fma_f32 v13, v12, v13, v6
	v_xor_b32_e32 v11, v11, v14
	v_fma_f32 v12, v12, v13, 1.0
	v_and_b32_e32 v13, 1, v2
	v_cndmask_b32_e64 v15, v10, v15, s[8:9]
	v_cndmask_b32_e64 v11, v10, v11, s[8:9]
	v_cmp_eq_u32_e64 s[8:9], 0, v13
	v_lshlrev_b32_e32 v2, 30, v2
	v_cndmask_b32_e64 v12, -v25, v12, s[8:9]
	v_and_b32_e32 v2, 0x80000000, v2
	v_xor_b32_e32 v2, v2, v12
	v_cndmask_b32_e32 v2, v10, v2, vcc
	v_mul_f32_e32 v12, v21, v2
	v_mov_b32_e32 v13, s20
	buffer_store_dword v12, v13, s[0:3], 0 offen
	v_mul_f32_e32 v12, v11, v17
	v_mul_f32_e32 v14, v15, v23
	v_fma_f32 v14, v12, v2, -v14
	buffer_store_dword v14, v13, s[0:3], 0 offen offset:4
	v_mul_f32_e32 v14, v15, v17
	v_mul_f32_e32 v16, v14, v2
	v_fmac_f32_e32 v16, v11, v23
	buffer_store_dword v16, v13, s[0:3], 0 offen offset:8
	s_waitcnt vmcnt(5)
	buffer_store_dword v22, v13, s[0:3], 0 offen offset:12
	v_mul_f32_e32 v16, v21, v23
	buffer_store_dword v16, v13, s[0:3], 0 offen offset:16
	v_mul_f32_e32 v16, v15, v2
	v_mul_f32_e32 v2, v11, v2
	v_fmac_f32_e32 v16, v12, v23
	v_fma_f32 v2, v14, v23, -v2
	buffer_store_dword v16, v13, s[0:3], 0 offen offset:20
	buffer_store_dword v2, v13, s[0:3], 0 offen offset:24
	s_waitcnt vmcnt(8)
	buffer_store_dword v26, v13, s[0:3], 0 offen offset:28
	v_xor_b32_e32 v2, 0x80000000, v17
	buffer_store_dword v2, v13, s[0:3], 0 offen offset:32
	v_mul_f32_e32 v2, v11, v21
	buffer_store_dword v2, v13, s[0:3], 0 offen offset:36
	v_mul_f32_e32 v2, v15, v21
	buffer_store_dword v2, v13, s[0:3], 0 offen offset:40
	s_waitcnt vmcnt(11)
	buffer_store_dword v18, v13, s[0:3], 0 offen offset:44
	v_add_u32_e64 v2, s19, 16
	s_add_i32 s19, s19, 4
	s_add_u32 s40, s40, s18
	s_addc_u32 s41, s41, 0
	s_add_u32 s42, s42, s18
	s_addc_u32 s43, s43, 0
	;; [unrolled: 2-line block ×6, first 2 shown]
	s_add_i32 s20, s20, 48
	s_cmpk_lg_i32 s19, 0x200
	buffer_store_dword v3, v2, s[0:3], 0 offen
	s_cbranch_scc0 .LBB7_26
.LBB7_2:                                ; =>This Inner Loop Header: Depth=1
	v_mov_b32_e32 v2, s41
	v_add_co_u32_e32 v11, vcc, s40, v0
	v_addc_co_u32_e32 v12, vcc, v2, v1, vcc
	global_load_dword v11, v[11:12], off
                                        ; implicit-def: $vgpr14
	s_waitcnt vmcnt(0)
	v_and_b32_e32 v12, 0x7fffffff, v11
	v_lshrrev_b32_e32 v2, 23, v12
	v_and_b32_e32 v13, 0x7fffff, v12
	v_cmp_nlt_f32_e64 s[14:15], |v11|, s21
	v_add_u32_e32 v18, 0xffffff88, v2
	v_or_b32_e32 v17, 0x800000, v13
                                        ; implicit-def: $vgpr13
	s_and_saveexec_b64 s[8:9], s[14:15]
	s_xor_b64 s[16:17], exec, s[8:9]
	s_cbranch_execz .LBB7_4
; %bb.3:                                ;   in Loop: Header=BB7_2 Depth=1
	v_mad_u64_u32 v[13:14], s[8:9], v17, s22, 0
	v_cmp_lt_u32_e32 vcc, 63, v18
	v_mov_b32_e32 v2, v14
	v_mad_u64_u32 v[14:15], s[8:9], v17, s23, v[2:3]
	v_mov_b32_e32 v2, v15
	v_mad_u64_u32 v[15:16], s[8:9], v17, s24, v[2:3]
	;; [unrolled: 2-line block ×3, first 2 shown]
	v_cndmask_b32_e32 v2, 0, v7, vcc
	v_add_u32_e32 v16, v2, v18
	v_mov_b32_e32 v2, v20
	v_mad_u64_u32 v[20:21], s[8:9], v17, s26, v[2:3]
	v_cmp_lt_u32_e64 s[8:9], 31, v16
	v_cndmask_b32_e64 v2, 0, v9, s[8:9]
	v_add_u32_e32 v16, v2, v16
	v_mov_b32_e32 v2, v21
	v_mad_u64_u32 v[21:22], s[10:11], v17, s27, v[2:3]
	v_cmp_lt_u32_e64 s[10:11], 31, v16
	v_cndmask_b32_e64 v2, 0, v9, s[10:11]
	v_add_u32_e32 v16, v2, v16
	v_mov_b32_e32 v2, v22
	v_mad_u64_u32 v[22:23], s[12:13], v17, s28, v[2:3]
	v_cndmask_b32_e32 v2, v20, v15, vcc
	v_cndmask_b32_e32 v24, v21, v19, vcc
	;; [unrolled: 1-line block ×4, first 2 shown]
	v_cndmask_b32_e64 v25, v24, v2, s[8:9]
	v_cndmask_b32_e64 v22, v20, v24, s[8:9]
	;; [unrolled: 1-line block ×3, first 2 shown]
	v_cndmask_b32_e32 v14, v19, v14, vcc
	v_cndmask_b32_e64 v20, v20, v22, s[10:11]
	v_cndmask_b32_e64 v21, v22, v25, s[10:11]
	v_sub_u32_e32 v22, 32, v16
	v_cndmask_b32_e64 v2, v2, v14, s[8:9]
	v_alignbit_b32 v23, v20, v21, v22
	v_cmp_eq_u32_e64 s[12:13], 0, v16
	v_cndmask_b32_e64 v19, v25, v2, s[10:11]
	v_cndmask_b32_e64 v16, v23, v20, s[12:13]
	v_alignbit_b32 v20, v21, v19, v22
	v_cndmask_b32_e32 v13, v15, v13, vcc
	v_cndmask_b32_e64 v20, v20, v21, s[12:13]
	v_bfe_u32 v24, v16, 29, 1
	v_cndmask_b32_e64 v13, v14, v13, s[8:9]
	v_alignbit_b32 v21, v16, v20, 30
	v_sub_u32_e32 v25, 0, v24
	v_cndmask_b32_e64 v2, v2, v13, s[10:11]
	v_xor_b32_e32 v21, v21, v25
	v_alignbit_b32 v13, v19, v2, v22
	v_cndmask_b32_e64 v13, v13, v19, s[12:13]
	v_ffbh_u32_e32 v15, v21
	v_alignbit_b32 v14, v20, v13, 30
	v_min_u32_e32 v15, 32, v15
	v_alignbit_b32 v2, v13, v2, 30
	v_xor_b32_e32 v14, v14, v25
	v_sub_u32_e32 v19, 31, v15
	v_xor_b32_e32 v2, v2, v25
	v_alignbit_b32 v20, v21, v14, v19
	v_alignbit_b32 v2, v14, v2, v19
	v_alignbit_b32 v13, v20, v2, 9
	v_ffbh_u32_e32 v14, v13
	v_min_u32_e32 v14, 32, v14
	v_lshrrev_b32_e32 v23, 29, v16
	v_not_b32_e32 v19, v14
	v_alignbit_b32 v2, v13, v2, v19
	v_lshlrev_b32_e32 v13, 31, v23
	v_or_b32_e32 v19, 0x33000000, v13
	v_add_lshl_u32 v14, v14, v15, 23
	v_lshrrev_b32_e32 v2, 9, v2
	v_sub_u32_e32 v14, v19, v14
	v_or_b32_e32 v13, 0.5, v13
	v_lshlrev_b32_e32 v15, 23, v15
	v_or_b32_e32 v2, v14, v2
	v_lshrrev_b32_e32 v14, 9, v20
	v_sub_u32_e32 v13, v13, v15
	v_or_b32_e32 v13, v14, v13
	v_mul_f32_e32 v14, 0x3fc90fda, v13
	v_fma_f32 v15, v13, s29, -v14
	v_fmac_f32_e32 v15, 0x33a22168, v13
	v_fmac_f32_e32 v15, 0x3fc90fda, v2
	v_lshrrev_b32_e32 v2, 30, v16
	v_add_f32_e32 v14, v14, v15
	v_add_u32_e32 v13, v24, v2
.LBB7_4:                                ;   in Loop: Header=BB7_2 Depth=1
	s_or_saveexec_b64 s[8:9], s[16:17]
	v_mul_f32_e64 v2, |v11|, s30
	v_rndne_f32_e32 v2, v2
	s_xor_b64 exec, exec, s[8:9]
; %bb.5:                                ;   in Loop: Header=BB7_2 Depth=1
	v_cvt_i32_f32_e32 v13, v2
	v_fma_f32 v14, v2, s31, |v11|
	v_fmac_f32_e32 v14, 0xb3a22168, v2
	v_fmac_f32_e32 v14, 0xa7c234c4, v2
; %bb.6:                                ;   in Loop: Header=BB7_2 Depth=1
	s_or_b64 exec, exec, s[8:9]
                                        ; implicit-def: $vgpr15
                                        ; implicit-def: $vgpr16
	s_and_saveexec_b64 s[8:9], s[14:15]
	s_xor_b64 s[14:15], exec, s[8:9]
	s_cbranch_execz .LBB7_8
; %bb.7:                                ;   in Loop: Header=BB7_2 Depth=1
	v_mad_u64_u32 v[15:16], s[8:9], v17, s22, 0
	v_cmp_lt_u32_e32 vcc, 63, v18
	v_mov_b32_e32 v2, v16
	v_mad_u64_u32 v[19:20], s[8:9], v17, s23, v[2:3]
	v_mov_b32_e32 v2, v20
	v_mad_u64_u32 v[20:21], s[8:9], v17, s24, v[2:3]
	;; [unrolled: 2-line block ×3, first 2 shown]
	v_cndmask_b32_e32 v2, 0, v7, vcc
	v_add_u32_e32 v16, v2, v18
	v_mov_b32_e32 v2, v22
	v_mad_u64_u32 v[22:23], s[8:9], v17, s26, v[2:3]
	v_cmp_lt_u32_e64 s[8:9], 31, v16
	v_cndmask_b32_e64 v2, 0, v9, s[8:9]
	v_add_u32_e32 v16, v2, v16
	v_mov_b32_e32 v2, v23
	v_mad_u64_u32 v[23:24], s[10:11], v17, s27, v[2:3]
	v_cmp_lt_u32_e64 s[10:11], 31, v16
	v_cndmask_b32_e64 v2, 0, v9, s[10:11]
	v_add_u32_e32 v18, v2, v16
	v_mov_b32_e32 v2, v24
	v_mad_u64_u32 v[16:17], s[12:13], v17, s28, v[2:3]
	v_cndmask_b32_e32 v2, v22, v20, vcc
	v_cndmask_b32_e32 v24, v23, v21, vcc
	;; [unrolled: 1-line block ×4, first 2 shown]
	v_cndmask_b32_e64 v25, v24, v2, s[8:9]
	v_cndmask_b32_e64 v22, v16, v24, s[8:9]
	;; [unrolled: 1-line block ×5, first 2 shown]
	v_sub_u32_e32 v22, 32, v18
	v_alignbit_b32 v23, v16, v17, v22
	v_cmp_eq_u32_e64 s[12:13], 0, v18
	v_cndmask_b32_e64 v18, v23, v16, s[12:13]
	v_cndmask_b32_e32 v16, v21, v19, vcc
	v_cndmask_b32_e64 v2, v2, v16, s[8:9]
	v_cndmask_b32_e64 v19, v25, v2, s[10:11]
	v_cndmask_b32_e32 v15, v20, v15, vcc
	v_alignbit_b32 v21, v17, v19, v22
	v_cndmask_b32_e64 v15, v16, v15, s[8:9]
	v_cndmask_b32_e64 v17, v21, v17, s[12:13]
	v_bfe_u32 v24, v18, 29, 1
	v_cndmask_b32_e64 v2, v2, v15, s[10:11]
	v_alignbit_b32 v21, v18, v17, 30
	v_sub_u32_e32 v25, 0, v24
	v_alignbit_b32 v15, v19, v2, v22
	v_xor_b32_e32 v21, v21, v25
	v_cndmask_b32_e64 v15, v15, v19, s[12:13]
	v_alignbit_b32 v16, v17, v15, 30
	v_ffbh_u32_e32 v17, v21
	v_min_u32_e32 v17, 32, v17
	v_alignbit_b32 v2, v15, v2, 30
	v_xor_b32_e32 v16, v16, v25
	v_sub_u32_e32 v19, 31, v17
	v_xor_b32_e32 v2, v2, v25
	v_alignbit_b32 v20, v21, v16, v19
	v_alignbit_b32 v2, v16, v2, v19
	;; [unrolled: 1-line block ×3, first 2 shown]
	v_ffbh_u32_e32 v16, v15
	v_min_u32_e32 v16, 32, v16
	v_lshrrev_b32_e32 v23, 29, v18
	v_not_b32_e32 v19, v16
	v_alignbit_b32 v2, v15, v2, v19
	v_lshlrev_b32_e32 v15, 31, v23
	v_or_b32_e32 v19, 0x33000000, v15
	v_add_lshl_u32 v16, v16, v17, 23
	v_lshrrev_b32_e32 v2, 9, v2
	v_sub_u32_e32 v16, v19, v16
	v_or_b32_e32 v15, 0.5, v15
	v_lshlrev_b32_e32 v17, 23, v17
	v_or_b32_e32 v2, v16, v2
	v_lshrrev_b32_e32 v16, 9, v20
	v_sub_u32_e32 v15, v15, v17
	v_or_b32_e32 v15, v16, v15
	v_mul_f32_e32 v16, 0x3fc90fda, v15
	v_fma_f32 v17, v15, s29, -v16
	v_fmac_f32_e32 v17, 0x33a22168, v15
	v_fmac_f32_e32 v17, 0x3fc90fda, v2
	v_lshrrev_b32_e32 v2, 30, v18
	v_add_f32_e32 v16, v16, v17
	v_add_u32_e32 v15, v24, v2
                                        ; implicit-def: $vgpr2
	s_andn2_saveexec_b64 s[8:9], s[14:15]
	s_cbranch_execnz .LBB7_9
	s_branch .LBB7_10
.LBB7_8:                                ;   in Loop: Header=BB7_2 Depth=1
	s_andn2_saveexec_b64 s[8:9], s[14:15]
.LBB7_9:                                ;   in Loop: Header=BB7_2 Depth=1
	v_cvt_i32_f32_e32 v15, v2
	v_fma_f32 v16, v2, s31, |v11|
	v_fmac_f32_e32 v16, 0xb3a22168, v2
	v_fmac_f32_e32 v16, 0xa7c234c4, v2
.LBB7_10:                               ;   in Loop: Header=BB7_2 Depth=1
	s_or_b64 exec, exec, s[8:9]
	v_mov_b32_e32 v2, s43
	v_add_co_u32_e32 v17, vcc, s42, v0
	v_addc_co_u32_e32 v18, vcc, v2, v1, vcc
	global_load_dword v17, v[17:18], off
                                        ; implicit-def: $vgpr20
	s_waitcnt vmcnt(0)
	v_and_b32_e32 v18, 0x7fffffff, v17
	v_lshrrev_b32_e32 v2, 23, v18
	v_and_b32_e32 v19, 0x7fffff, v18
	v_cmp_nlt_f32_e64 s[14:15], |v17|, s21
	v_add_u32_e32 v24, 0xffffff88, v2
	v_or_b32_e32 v23, 0x800000, v19
                                        ; implicit-def: $vgpr19
	s_and_saveexec_b64 s[8:9], s[14:15]
	s_xor_b64 s[16:17], exec, s[8:9]
	s_cbranch_execz .LBB7_12
; %bb.11:                               ;   in Loop: Header=BB7_2 Depth=1
	v_mad_u64_u32 v[19:20], s[8:9], v23, s22, 0
	v_cmp_lt_u32_e32 vcc, 63, v24
	v_mov_b32_e32 v2, v20
	v_mad_u64_u32 v[20:21], s[8:9], v23, s23, v[2:3]
	v_mov_b32_e32 v2, v21
	v_mad_u64_u32 v[21:22], s[8:9], v23, s24, v[2:3]
	;; [unrolled: 2-line block ×3, first 2 shown]
	v_cndmask_b32_e32 v2, 0, v7, vcc
	v_add_u32_e32 v22, v2, v24
	v_mov_b32_e32 v2, v26
	v_mad_u64_u32 v[26:27], s[8:9], v23, s26, v[2:3]
	v_cmp_lt_u32_e64 s[8:9], 31, v22
	v_cndmask_b32_e64 v2, 0, v9, s[8:9]
	v_add_u32_e32 v22, v2, v22
	v_mov_b32_e32 v2, v27
	v_mad_u64_u32 v[27:28], s[10:11], v23, s27, v[2:3]
	v_cmp_lt_u32_e64 s[10:11], 31, v22
	v_cndmask_b32_e64 v2, 0, v9, s[10:11]
	v_add_u32_e32 v22, v2, v22
	v_mov_b32_e32 v2, v28
	v_mad_u64_u32 v[28:29], s[12:13], v23, s28, v[2:3]
	v_cndmask_b32_e32 v2, v26, v21, vcc
	v_cndmask_b32_e32 v30, v27, v25, vcc
	;; [unrolled: 1-line block ×4, first 2 shown]
	v_cndmask_b32_e64 v31, v30, v2, s[8:9]
	v_cndmask_b32_e64 v28, v26, v30, s[8:9]
	;; [unrolled: 1-line block ×3, first 2 shown]
	v_cndmask_b32_e32 v20, v25, v20, vcc
	v_cndmask_b32_e64 v26, v26, v28, s[10:11]
	v_cndmask_b32_e64 v27, v28, v31, s[10:11]
	v_sub_u32_e32 v28, 32, v22
	v_cndmask_b32_e64 v2, v2, v20, s[8:9]
	v_alignbit_b32 v29, v26, v27, v28
	v_cmp_eq_u32_e64 s[12:13], 0, v22
	v_cndmask_b32_e64 v25, v31, v2, s[10:11]
	v_cndmask_b32_e64 v22, v29, v26, s[12:13]
	v_alignbit_b32 v26, v27, v25, v28
	v_cndmask_b32_e32 v19, v21, v19, vcc
	v_cndmask_b32_e64 v26, v26, v27, s[12:13]
	v_bfe_u32 v30, v22, 29, 1
	v_cndmask_b32_e64 v19, v20, v19, s[8:9]
	v_alignbit_b32 v27, v22, v26, 30
	v_sub_u32_e32 v31, 0, v30
	v_cndmask_b32_e64 v2, v2, v19, s[10:11]
	v_xor_b32_e32 v27, v27, v31
	v_alignbit_b32 v19, v25, v2, v28
	v_cndmask_b32_e64 v19, v19, v25, s[12:13]
	v_ffbh_u32_e32 v21, v27
	v_alignbit_b32 v20, v26, v19, 30
	v_min_u32_e32 v21, 32, v21
	v_alignbit_b32 v2, v19, v2, 30
	v_xor_b32_e32 v20, v20, v31
	v_sub_u32_e32 v25, 31, v21
	v_xor_b32_e32 v2, v2, v31
	v_alignbit_b32 v26, v27, v20, v25
	v_alignbit_b32 v2, v20, v2, v25
	;; [unrolled: 1-line block ×3, first 2 shown]
	v_ffbh_u32_e32 v20, v19
	v_min_u32_e32 v20, 32, v20
	v_lshrrev_b32_e32 v29, 29, v22
	v_not_b32_e32 v25, v20
	v_alignbit_b32 v2, v19, v2, v25
	v_lshlrev_b32_e32 v19, 31, v29
	v_or_b32_e32 v25, 0x33000000, v19
	v_add_lshl_u32 v20, v20, v21, 23
	v_lshrrev_b32_e32 v2, 9, v2
	v_sub_u32_e32 v20, v25, v20
	v_or_b32_e32 v19, 0.5, v19
	v_lshlrev_b32_e32 v21, 23, v21
	v_or_b32_e32 v2, v20, v2
	v_lshrrev_b32_e32 v20, 9, v26
	v_sub_u32_e32 v19, v19, v21
	v_or_b32_e32 v19, v20, v19
	v_mul_f32_e32 v20, 0x3fc90fda, v19
	v_fma_f32 v21, v19, s29, -v20
	v_fmac_f32_e32 v21, 0x33a22168, v19
	v_fmac_f32_e32 v21, 0x3fc90fda, v2
	v_lshrrev_b32_e32 v2, 30, v22
	v_add_f32_e32 v20, v20, v21
	v_add_u32_e32 v19, v30, v2
.LBB7_12:                               ;   in Loop: Header=BB7_2 Depth=1
	s_or_saveexec_b64 s[8:9], s[16:17]
	v_mul_f32_e64 v2, |v17|, s30
	v_rndne_f32_e32 v2, v2
	s_xor_b64 exec, exec, s[8:9]
; %bb.13:                               ;   in Loop: Header=BB7_2 Depth=1
	v_cvt_i32_f32_e32 v19, v2
	v_fma_f32 v20, v2, s31, |v17|
	v_fmac_f32_e32 v20, 0xb3a22168, v2
	v_fmac_f32_e32 v20, 0xa7c234c4, v2
; %bb.14:                               ;   in Loop: Header=BB7_2 Depth=1
	s_or_b64 exec, exec, s[8:9]
                                        ; implicit-def: $vgpr21
                                        ; implicit-def: $vgpr22
	s_and_saveexec_b64 s[8:9], s[14:15]
	s_xor_b64 s[14:15], exec, s[8:9]
	s_cbranch_execz .LBB7_16
; %bb.15:                               ;   in Loop: Header=BB7_2 Depth=1
	v_mad_u64_u32 v[21:22], s[8:9], v23, s22, 0
	v_cmp_lt_u32_e32 vcc, 63, v24
	v_mov_b32_e32 v2, v22
	v_mad_u64_u32 v[25:26], s[8:9], v23, s23, v[2:3]
	v_mov_b32_e32 v2, v26
	v_mad_u64_u32 v[26:27], s[8:9], v23, s24, v[2:3]
	;; [unrolled: 2-line block ×3, first 2 shown]
	v_cndmask_b32_e32 v2, 0, v7, vcc
	v_add_u32_e32 v22, v2, v24
	v_mov_b32_e32 v2, v28
	v_mad_u64_u32 v[28:29], s[8:9], v23, s26, v[2:3]
	v_cmp_lt_u32_e64 s[8:9], 31, v22
	v_cndmask_b32_e64 v2, 0, v9, s[8:9]
	v_add_u32_e32 v22, v2, v22
	v_mov_b32_e32 v2, v29
	v_mad_u64_u32 v[29:30], s[10:11], v23, s27, v[2:3]
	v_cmp_lt_u32_e64 s[10:11], 31, v22
	v_cndmask_b32_e64 v2, 0, v9, s[10:11]
	v_add_u32_e32 v24, v2, v22
	v_mov_b32_e32 v2, v30
	v_mad_u64_u32 v[22:23], s[12:13], v23, s28, v[2:3]
	v_cndmask_b32_e32 v2, v28, v26, vcc
	v_cndmask_b32_e32 v30, v29, v27, vcc
	;; [unrolled: 1-line block ×4, first 2 shown]
	v_cndmask_b32_e64 v31, v30, v2, s[8:9]
	v_cndmask_b32_e64 v28, v22, v30, s[8:9]
	;; [unrolled: 1-line block ×5, first 2 shown]
	v_sub_u32_e32 v28, 32, v24
	v_alignbit_b32 v29, v22, v23, v28
	v_cmp_eq_u32_e64 s[12:13], 0, v24
	v_cndmask_b32_e64 v24, v29, v22, s[12:13]
	v_cndmask_b32_e32 v22, v27, v25, vcc
	v_cndmask_b32_e64 v2, v2, v22, s[8:9]
	v_cndmask_b32_e64 v25, v31, v2, s[10:11]
	v_cndmask_b32_e32 v21, v26, v21, vcc
	v_alignbit_b32 v27, v23, v25, v28
	v_cndmask_b32_e64 v21, v22, v21, s[8:9]
	v_cndmask_b32_e64 v23, v27, v23, s[12:13]
	v_bfe_u32 v30, v24, 29, 1
	v_cndmask_b32_e64 v2, v2, v21, s[10:11]
	v_alignbit_b32 v27, v24, v23, 30
	v_sub_u32_e32 v31, 0, v30
	v_alignbit_b32 v21, v25, v2, v28
	v_xor_b32_e32 v27, v27, v31
	v_cndmask_b32_e64 v21, v21, v25, s[12:13]
	v_alignbit_b32 v22, v23, v21, 30
	v_ffbh_u32_e32 v23, v27
	v_min_u32_e32 v23, 32, v23
	v_alignbit_b32 v2, v21, v2, 30
	v_xor_b32_e32 v22, v22, v31
	v_sub_u32_e32 v25, 31, v23
	v_xor_b32_e32 v2, v2, v31
	v_alignbit_b32 v26, v27, v22, v25
	v_alignbit_b32 v2, v22, v2, v25
	;; [unrolled: 1-line block ×3, first 2 shown]
	v_ffbh_u32_e32 v22, v21
	v_min_u32_e32 v22, 32, v22
	v_lshrrev_b32_e32 v29, 29, v24
	v_not_b32_e32 v25, v22
	v_alignbit_b32 v2, v21, v2, v25
	v_lshlrev_b32_e32 v21, 31, v29
	v_or_b32_e32 v25, 0x33000000, v21
	v_add_lshl_u32 v22, v22, v23, 23
	v_lshrrev_b32_e32 v2, 9, v2
	v_sub_u32_e32 v22, v25, v22
	v_or_b32_e32 v21, 0.5, v21
	v_lshlrev_b32_e32 v23, 23, v23
	v_or_b32_e32 v2, v22, v2
	v_lshrrev_b32_e32 v22, 9, v26
	v_sub_u32_e32 v21, v21, v23
	v_or_b32_e32 v21, v22, v21
	v_mul_f32_e32 v22, 0x3fc90fda, v21
	v_fma_f32 v23, v21, s29, -v22
	v_fmac_f32_e32 v23, 0x33a22168, v21
	v_fmac_f32_e32 v23, 0x3fc90fda, v2
	v_lshrrev_b32_e32 v2, 30, v24
	v_add_f32_e32 v22, v22, v23
	v_add_u32_e32 v21, v30, v2
                                        ; implicit-def: $vgpr2
	s_andn2_saveexec_b64 s[8:9], s[14:15]
	s_cbranch_execnz .LBB7_17
	s_branch .LBB7_18
.LBB7_16:                               ;   in Loop: Header=BB7_2 Depth=1
	s_andn2_saveexec_b64 s[8:9], s[14:15]
.LBB7_17:                               ;   in Loop: Header=BB7_2 Depth=1
	v_cvt_i32_f32_e32 v21, v2
	v_fma_f32 v22, v2, s31, |v17|
	v_fmac_f32_e32 v22, 0xb3a22168, v2
	v_fmac_f32_e32 v22, 0xa7c234c4, v2
.LBB7_18:                               ;   in Loop: Header=BB7_2 Depth=1
	s_or_b64 exec, exec, s[8:9]
	v_mov_b32_e32 v2, s45
	v_add_co_u32_e32 v23, vcc, s44, v0
	v_addc_co_u32_e32 v24, vcc, v2, v1, vcc
	global_load_dword v23, v[23:24], off
                                        ; implicit-def: $vgpr26
                                        ; implicit-def: $vgpr28
	s_waitcnt vmcnt(0)
	v_and_b32_e32 v24, 0x7fffffff, v23
	v_lshrrev_b32_e32 v2, 23, v24
	v_and_b32_e32 v25, 0x7fffff, v24
	v_cmp_nlt_f32_e64 s[14:15], |v23|, s21
	v_add_u32_e32 v29, 0xffffff88, v2
	v_or_b32_e32 v27, 0x800000, v25
	s_and_saveexec_b64 s[8:9], s[14:15]
	s_xor_b64 s[16:17], exec, s[8:9]
	s_cbranch_execz .LBB7_20
; %bb.19:                               ;   in Loop: Header=BB7_2 Depth=1
	v_mad_u64_u32 v[25:26], s[8:9], v27, s22, 0
	v_cmp_lt_u32_e32 vcc, 63, v29
	v_mov_b32_e32 v2, v26
	v_mad_u64_u32 v[30:31], s[8:9], v27, s23, v[2:3]
	v_mov_b32_e32 v2, v31
	v_mad_u64_u32 v[31:32], s[8:9], v27, s24, v[2:3]
	;; [unrolled: 2-line block ×3, first 2 shown]
	v_cndmask_b32_e32 v2, 0, v7, vcc
	v_add_u32_e32 v26, v2, v29
	v_mov_b32_e32 v2, v33
	v_mad_u64_u32 v[33:34], s[8:9], v27, s26, v[2:3]
	v_cmp_lt_u32_e64 s[8:9], 31, v26
	v_cndmask_b32_e64 v2, 0, v9, s[8:9]
	v_add_u32_e32 v26, v2, v26
	v_mov_b32_e32 v2, v34
	v_mad_u64_u32 v[34:35], s[10:11], v27, s27, v[2:3]
	v_cmp_lt_u32_e64 s[10:11], 31, v26
	v_cndmask_b32_e64 v2, 0, v9, s[10:11]
	v_add_u32_e32 v26, v2, v26
	v_mov_b32_e32 v2, v35
	v_mad_u64_u32 v[35:36], s[12:13], v27, s28, v[2:3]
	v_cndmask_b32_e32 v2, v33, v31, vcc
	v_cndmask_b32_e32 v28, v34, v32, vcc
	;; [unrolled: 1-line block ×4, first 2 shown]
	v_cndmask_b32_e64 v37, v28, v2, s[8:9]
	v_cndmask_b32_e64 v28, v33, v28, s[8:9]
	;; [unrolled: 1-line block ×3, first 2 shown]
	v_cndmask_b32_e32 v30, v32, v30, vcc
	v_cndmask_b32_e64 v33, v33, v28, s[10:11]
	v_cndmask_b32_e64 v28, v28, v37, s[10:11]
	v_sub_u32_e32 v34, 32, v26
	v_cndmask_b32_e64 v2, v2, v30, s[8:9]
	v_alignbit_b32 v35, v33, v28, v34
	v_cmp_eq_u32_e64 s[12:13], 0, v26
	v_cndmask_b32_e64 v32, v37, v2, s[10:11]
	v_cndmask_b32_e64 v26, v35, v33, s[12:13]
	v_alignbit_b32 v33, v28, v32, v34
	v_cndmask_b32_e32 v25, v31, v25, vcc
	v_cndmask_b32_e64 v28, v33, v28, s[12:13]
	v_bfe_u32 v36, v26, 29, 1
	v_cndmask_b32_e64 v25, v30, v25, s[8:9]
	v_alignbit_b32 v33, v26, v28, 30
	v_sub_u32_e32 v37, 0, v36
	v_cndmask_b32_e64 v2, v2, v25, s[10:11]
	v_xor_b32_e32 v33, v33, v37
	v_alignbit_b32 v25, v32, v2, v34
	v_cndmask_b32_e64 v25, v25, v32, s[12:13]
	v_ffbh_u32_e32 v30, v33
	v_alignbit_b32 v28, v28, v25, 30
	v_min_u32_e32 v30, 32, v30
	v_alignbit_b32 v2, v25, v2, 30
	v_xor_b32_e32 v28, v28, v37
	v_sub_u32_e32 v31, 31, v30
	v_xor_b32_e32 v2, v2, v37
	v_alignbit_b32 v32, v33, v28, v31
	v_alignbit_b32 v2, v28, v2, v31
	;; [unrolled: 1-line block ×3, first 2 shown]
	v_ffbh_u32_e32 v28, v25
	v_min_u32_e32 v28, 32, v28
	v_lshrrev_b32_e32 v35, 29, v26
	v_not_b32_e32 v31, v28
	v_alignbit_b32 v2, v25, v2, v31
	v_lshlrev_b32_e32 v25, 31, v35
	v_or_b32_e32 v31, 0x33000000, v25
	v_add_lshl_u32 v28, v28, v30, 23
	v_lshrrev_b32_e32 v2, 9, v2
	v_sub_u32_e32 v28, v31, v28
	v_or_b32_e32 v25, 0.5, v25
	v_lshlrev_b32_e32 v30, 23, v30
	v_or_b32_e32 v2, v28, v2
	v_lshrrev_b32_e32 v28, 9, v32
	v_sub_u32_e32 v25, v25, v30
	v_or_b32_e32 v25, v28, v25
	v_mul_f32_e32 v28, 0x3fc90fda, v25
	v_fma_f32 v30, v25, s29, -v28
	v_fmac_f32_e32 v30, 0x33a22168, v25
	v_fmac_f32_e32 v30, 0x3fc90fda, v2
	v_lshrrev_b32_e32 v2, 30, v26
	v_add_f32_e32 v28, v28, v30
	v_add_u32_e32 v26, v36, v2
.LBB7_20:                               ;   in Loop: Header=BB7_2 Depth=1
	s_or_saveexec_b64 s[8:9], s[16:17]
	v_mul_f32_e64 v2, |v23|, s30
	v_rndne_f32_e32 v30, v2
	s_xor_b64 exec, exec, s[8:9]
; %bb.21:                               ;   in Loop: Header=BB7_2 Depth=1
	v_cvt_i32_f32_e32 v26, v30
	v_fma_f32 v28, v30, s31, |v23|
	v_fmac_f32_e32 v28, 0xb3a22168, v30
	v_fmac_f32_e32 v28, 0xa7c234c4, v30
; %bb.22:                               ;   in Loop: Header=BB7_2 Depth=1
	s_or_b64 exec, exec, s[8:9]
                                        ; implicit-def: $vgpr2
                                        ; implicit-def: $vgpr25
	s_and_saveexec_b64 s[8:9], s[14:15]
	s_xor_b64 s[14:15], exec, s[8:9]
	s_cbranch_execz .LBB7_24
; %bb.23:                               ;   in Loop: Header=BB7_2 Depth=1
	v_mad_u64_u32 v[30:31], s[8:9], v27, s22, 0
	v_cmp_lt_u32_e32 vcc, 63, v29
	v_mov_b32_e32 v2, v31
	v_mad_u64_u32 v[31:32], s[8:9], v27, s23, v[2:3]
	v_mov_b32_e32 v2, v32
	v_mad_u64_u32 v[32:33], s[8:9], v27, s24, v[2:3]
	v_mov_b32_e32 v2, v33
	v_mad_u64_u32 v[33:34], s[8:9], v27, s25, v[2:3]
	v_cndmask_b32_e32 v2, 0, v7, vcc
	v_add_u32_e32 v25, v2, v29
	v_mov_b32_e32 v2, v34
	v_mad_u64_u32 v[34:35], s[8:9], v27, s26, v[2:3]
	v_cmp_lt_u32_e64 s[8:9], 31, v25
	v_cndmask_b32_e64 v2, 0, v9, s[8:9]
	v_add_u32_e32 v25, v2, v25
	v_mov_b32_e32 v2, v35
	v_mad_u64_u32 v[35:36], s[10:11], v27, s27, v[2:3]
	v_cmp_lt_u32_e64 s[10:11], 31, v25
	v_cndmask_b32_e64 v2, 0, v9, s[10:11]
	v_add_u32_e32 v25, v2, v25
	v_mov_b32_e32 v2, v36
	v_mad_u64_u32 v[36:37], s[12:13], v27, s28, v[2:3]
	v_cndmask_b32_e32 v2, v34, v32, vcc
	v_cndmask_b32_e32 v27, v35, v33, vcc
	;; [unrolled: 1-line block ×4, first 2 shown]
	v_cndmask_b32_e64 v29, v27, v2, s[8:9]
	v_cndmask_b32_e64 v27, v34, v27, s[8:9]
	;; [unrolled: 1-line block ×3, first 2 shown]
	v_sub_u32_e32 v35, 32, v25
	v_cmp_eq_u32_e64 s[12:13], 0, v25
	v_cndmask_b32_e32 v25, v33, v31, vcc
	v_cndmask_b32_e64 v34, v34, v27, s[10:11]
	v_cndmask_b32_e64 v27, v27, v29, s[10:11]
	;; [unrolled: 1-line block ×3, first 2 shown]
	v_alignbit_b32 v36, v34, v27, v35
	v_cndmask_b32_e64 v29, v29, v2, s[10:11]
	v_cndmask_b32_e64 v34, v36, v34, s[12:13]
	v_alignbit_b32 v31, v27, v29, v35
	v_cndmask_b32_e32 v30, v32, v30, vcc
	v_cndmask_b32_e64 v27, v31, v27, s[12:13]
	v_bfe_u32 v36, v34, 29, 1
	v_cndmask_b32_e64 v25, v25, v30, s[8:9]
	v_alignbit_b32 v31, v34, v27, 30
	v_sub_u32_e32 v37, 0, v36
	v_cndmask_b32_e64 v2, v2, v25, s[10:11]
	v_xor_b32_e32 v31, v31, v37
	v_alignbit_b32 v25, v29, v2, v35
	v_cndmask_b32_e64 v25, v25, v29, s[12:13]
	v_ffbh_u32_e32 v29, v31
	v_alignbit_b32 v27, v27, v25, 30
	v_min_u32_e32 v29, 32, v29
	v_alignbit_b32 v2, v25, v2, 30
	v_xor_b32_e32 v27, v27, v37
	v_sub_u32_e32 v30, 31, v29
	v_xor_b32_e32 v2, v2, v37
	v_alignbit_b32 v31, v31, v27, v30
	v_alignbit_b32 v2, v27, v2, v30
	;; [unrolled: 1-line block ×3, first 2 shown]
	v_ffbh_u32_e32 v27, v25
	v_min_u32_e32 v27, 32, v27
	v_lshrrev_b32_e32 v33, 29, v34
	v_not_b32_e32 v30, v27
	v_alignbit_b32 v2, v25, v2, v30
	v_lshlrev_b32_e32 v25, 31, v33
	v_or_b32_e32 v30, 0x33000000, v25
	v_add_lshl_u32 v27, v27, v29, 23
	v_lshrrev_b32_e32 v2, 9, v2
	v_sub_u32_e32 v27, v30, v27
	v_or_b32_e32 v25, 0.5, v25
	v_lshlrev_b32_e32 v29, 23, v29
	v_or_b32_e32 v2, v27, v2
	v_lshrrev_b32_e32 v27, 9, v31
	v_sub_u32_e32 v25, v25, v29
	v_or_b32_e32 v25, v27, v25
	v_mul_f32_e32 v27, 0x3fc90fda, v25
	v_fma_f32 v29, v25, s29, -v27
	v_fmac_f32_e32 v29, 0x33a22168, v25
	v_fmac_f32_e32 v29, 0x3fc90fda, v2
	v_lshrrev_b32_e32 v2, 30, v34
	v_add_f32_e32 v25, v27, v29
	v_add_u32_e32 v2, v36, v2
                                        ; implicit-def: $vgpr30
	s_andn2_saveexec_b64 s[8:9], s[14:15]
	s_cbranch_execz .LBB7_1
	s_branch .LBB7_25
.LBB7_24:                               ;   in Loop: Header=BB7_2 Depth=1
	s_andn2_saveexec_b64 s[8:9], s[14:15]
	s_cbranch_execz .LBB7_1
.LBB7_25:                               ;   in Loop: Header=BB7_2 Depth=1
	v_cvt_i32_f32_e32 v2, v30
	v_fma_f32 v25, v30, s31, |v23|
	v_fmac_f32_e32 v25, 0xb3a22168, v30
	v_fmac_f32_e32 v25, 0xa7c234c4, v30
	s_branch .LBB7_1
.LBB7_26:
	s_load_dwordx2 s[8:9], s[4:5], 0x0
	s_load_dwordx4 s[40:43], s[4:5], 0x48
	s_mov_b32 s35, 0
	v_mov_b32_e32 v9, 0
	s_movk_i32 s50, 0x46
	s_waitcnt lgkmcnt(0)
	s_max_i32 s48, s9, 1
	s_max_i32 s49, s8, 1
	s_movk_i32 s51, 0x45
	s_mov_b32 s52, 0xf800000
	v_mov_b32_e32 v10, 0x260
	v_mov_b32_e32 v11, 0x40b00000
	;; [unrolled: 1-line block ×5, first 2 shown]
	s_mov_b32 s44, s35
.LBB7_27:                               ; =>This Loop Header: Depth=1
                                        ;     Child Loop BB7_28 Depth 2
                                        ;     Child Loop BB7_30 Depth 2
                                        ;       Child Loop BB7_31 Depth 3
	s_mov_b32 s45, s35
	s_lshl_b64 s[4:5], s[44:45], 4
	s_add_u32 s4, s38, s4
	s_addc_u32 s5, s39, s5
	global_load_dwordx4 v[4:7], v9, s[4:5]
	v_mov_b32_e32 v2, s43
	s_movk_i32 s4, 0x210
	s_mov_b32 s5, s35
	s_waitcnt vmcnt(0)
	v_ashrrev_i32_e32 v1, 31, v7
	v_mov_b32_e32 v0, v7
	v_lshlrev_b64 v[0:1], 4, v[0:1]
	v_add_co_u32_e32 v0, vcc, s42, v0
	v_addc_co_u32_e32 v1, vcc, v2, v1, vcc
	global_load_dwordx4 v[0:3], v[0:1], off
.LBB7_28:                               ;   Parent Loop BB7_27 Depth=1
                                        ; =>  This Inner Loop Header: Depth=2
	v_mov_b32_e32 v18, s4
	buffer_load_dword v23, v18, s[0:3], 0 offen
	buffer_load_dword v7, v18, s[0:3], 0 offen offset:12
	buffer_load_dword v24, v18, s[0:3], 0 offen offset:16
	;; [unrolled: 1-line block ×38, first 2 shown]
	v_mov_b32_e32 v54, 0x1a10
	s_addk_i32 s4, 0xc0
	s_waitcnt vmcnt(37)
	v_fmac_f32_e32 v7, v4, v23
	buffer_load_dword v23, v18, s[0:3], 0 offen offset:148
	s_waitcnt vmcnt(36)
	v_fmac_f32_e32 v15, v4, v24
	buffer_load_dword v24, v18, s[0:3], 0 offen offset:164
	;; [unrolled: 3-line block ×4, first 2 shown]
	s_waitcnt vmcnt(33)
	v_fmac_f32_e32 v19, v4, v29
	s_waitcnt vmcnt(31)
	v_fmac_f32_e32 v20, v4, v31
	buffer_load_dword v31, v18, s[0:3], 0 offen offset:152
	s_waitcnt vmcnt(30)
	v_fmac_f32_e32 v21, v4, v30
	buffer_load_dword v30, v18, s[0:3], 0 offen offset:136
	buffer_load_dword v29, v18, s[0:3], 0 offen offset:104
	s_waitcnt vmcnt(30)
	v_fmac_f32_e32 v22, v4, v32
	buffer_load_dword v32, v18, s[0:3], 0 offen offset:184
	s_nop 0
	buffer_load_dword v18, v18, s[0:3], 0 offen offset:168
	s_waitcnt vmcnt(30)
	v_fmac_f32_e32 v27, v4, v34
	v_add_u32_e32 v34, s5, v54
	s_add_i32 s5, s5, 48
	s_waitcnt vmcnt(28)
	v_fmac_f32_e32 v28, v4, v33
	s_waitcnt vmcnt(26)
	v_fmac_f32_e32 v36, v4, v35
	s_waitcnt vmcnt(24)
	v_fmac_f32_e32 v38, v4, v37
	s_waitcnt vmcnt(23)
	v_fmac_f32_e32 v7, v5, v39
	s_cmpk_eq_i32 s5, 0x600
	s_waitcnt vmcnt(22)
	v_fmac_f32_e32 v15, v5, v40
	s_waitcnt vmcnt(20)
	v_fmac_f32_e32 v7, v6, v42
	;; [unrolled: 2-line block ×4, first 2 shown]
	v_fmac_f32_e32 v15, v6, v41
	s_waitcnt vmcnt(16)
	v_fmac_f32_e32 v16, v6, v46
	s_waitcnt vmcnt(15)
	;; [unrolled: 2-line block ×3, first 2 shown]
	v_fmac_f32_e32 v20, v5, v48
	v_fmac_f32_e32 v17, v6, v45
	s_waitcnt vmcnt(12)
	v_fmac_f32_e32 v19, v6, v50
	s_waitcnt vmcnt(11)
	;; [unrolled: 2-line block ×4, first 2 shown]
	v_fmac_f32_e32 v27, v5, v53
	v_fmac_f32_e32 v20, v6, v49
	s_waitcnt vmcnt(8)
	v_fmac_f32_e32 v28, v5, v23
	s_waitcnt vmcnt(7)
	;; [unrolled: 2-line block ×9, first 2 shown]
	v_fmac_f32_e32 v36, v6, v18
	buffer_store_dword v7, v34, s[0:3], 0 offen
	buffer_store_dword v15, v34, s[0:3], 0 offen offset:4
	buffer_store_dword v16, v34, s[0:3], 0 offen offset:8
	;; [unrolled: 1-line block ×11, first 2 shown]
	s_cbranch_scc0 .LBB7_28
; %bb.29:                               ;   in Loop: Header=BB7_27 Depth=1
	v_cmp_gt_f32_e64 s[12:13], 0, v2
	v_cmp_lt_f32_e64 s[4:5], 0, v2
	v_cmp_eq_u32_e64 s[8:9], s50, v0
	v_cmp_eq_u32_e64 s[10:11], s51, v0
	v_cndmask_b32_e64 v0, 1.0, v11, s[12:13]
	v_cndmask_b32_e64 v15, v12, 1.0, s[12:13]
	s_mov_b32 s34, 0
.LBB7_30:                               ;   Parent Loop BB7_27 Depth=1
                                        ; =>  This Loop Header: Depth=2
                                        ;       Child Loop BB7_31 Depth 3
	s_lshl_b64 s[14:15], s[34:35], 4
	s_add_u32 s14, s36, s14
	s_addc_u32 s15, s37, s15
	global_load_dwordx4 v[4:7], v9, s[14:15]
	v_mov_b32_e32 v18, s43
	s_movk_i32 s45, 0x1a10
	s_mov_b32 s53, 0
	s_waitcnt vmcnt(0)
	v_ashrrev_i32_e32 v17, 31, v7
	v_mov_b32_e32 v16, v7
	v_lshlrev_b64 v[16:17], 4, v[16:17]
	v_add_co_u32_e32 v16, vcc, s42, v16
	v_addc_co_u32_e32 v17, vcc, v18, v17, vcc
	global_load_dwordx4 v[17:20], v[16:17], off
	s_waitcnt vmcnt(0)
	v_add_f32_e32 v7, v1, v18
	v_cmp_gt_f32_e64 s[14:15], 0, v19
	v_cndmask_b32_e64 v16, v15, v0, s[14:15]
	v_div_scale_f32 v18, s[16:17], v7, v7, 1.0
	v_div_scale_f32 v21, s[16:17], v16, v16, 1.0
	v_div_scale_f32 v22, vcc, 1.0, v7, 1.0
	v_div_scale_f32 v23, s[16:17], 1.0, v16, 1.0
	v_cmp_lt_f32_e64 s[20:21], 0, v19
	s_and_b64 s[14:15], s[14:15], s[4:5]
	v_cmp_eq_u32_e64 s[18:19], s51, v17
	s_or_b64 s[46:47], s[18:19], s[10:11]
	v_rcp_f32_e32 v24, v18
	v_rcp_f32_e32 v25, v21
	v_fma_f32 v26, -v18, v24, 1.0
	v_fmac_f32_e32 v24, v26, v24
	v_fma_f32 v27, -v21, v25, 1.0
	v_fmac_f32_e32 v25, v27, v25
	v_mul_f32_e32 v26, v22, v24
	v_mul_f32_e32 v27, v23, v25
	v_fma_f32 v28, -v18, v26, v22
	v_fma_f32 v29, -v21, v27, v23
	v_fmac_f32_e32 v26, v28, v24
	v_fmac_f32_e32 v27, v29, v25
	v_fma_f32 v18, -v18, v26, v22
	v_fma_f32 v21, -v21, v27, v23
	v_div_fmas_f32 v22, v18, v24, v26
	s_mov_b64 vcc, s[16:17]
	v_div_fmas_f32 v23, v21, v25, v27
	v_cmp_eq_u32_e64 s[16:17], s50, v17
	v_mul_f32_e32 v17, v3, v20
	v_cndmask_b32_e64 v20, v19, -v19, s[14:15]
	s_and_b64 s[14:15], s[20:21], s[12:13]
	s_and_b64 s[16:17], s[16:17], s[8:9]
	v_cndmask_b32_e64 v21, v2, -v2, s[14:15]
	v_cmp_neq_f32_e32 vcc, 0, v19
	v_cndmask_b32_e64 v18, 2.0, 4.0, s[16:17]
	v_cndmask_b32_e64 v19, 0.5, v13, s[16:17]
	v_add_f32_e32 v20, v20, v21
	v_div_fixup_f32 v21, v22, v7, 1.0
	v_div_fixup_f32 v22, v23, v16, 1.0
.LBB7_31:                               ;   Parent Loop BB7_27 Depth=1
                                        ;     Parent Loop BB7_30 Depth=2
                                        ; =>    This Inner Loop Header: Depth=3
	v_mov_b32_e32 v24, s45
	v_add_u32_e64 v23, s53, 16
	buffer_load_dword v28, v24, s[0:3], 0 offen
	buffer_load_dword v29, v24, s[0:3], 0 offen offset:4
	buffer_load_dword v30, v24, s[0:3], 0 offen offset:8
	;; [unrolled: 1-line block ×11, first 2 shown]
	s_nop 0
	buffer_load_dword v24, v23, s[0:3], 0 offen
	buffer_load_dword v25, v23, s[0:3], 0 offen offset:4
	buffer_load_dword v26, v23, s[0:3], 0 offen offset:8
	;; [unrolled: 1-line block ×3, first 2 shown]
	s_add_i32 s53, s53, 16
	s_add_i32 s45, s45, 48
	s_waitcnt vmcnt(15)
	v_sub_f32_e32 v28, v28, v4
	s_waitcnt vmcnt(14)
	v_sub_f32_e32 v29, v29, v5
	v_mul_f32_e32 v29, v29, v29
	s_waitcnt vmcnt(13)
	v_sub_f32_e32 v30, v30, v6
	s_waitcnt vmcnt(11)
	v_sub_f32_e32 v32, v32, v5
	v_sub_f32_e32 v31, v31, v4
	s_waitcnt vmcnt(9)
	v_sub_f32_e32 v34, v34, v4
	s_waitcnt vmcnt(8)
	v_sub_f32_e32 v35, v35, v5
	v_mul_f32_e32 v32, v32, v32
	v_mul_f32_e32 v35, v35, v35
	s_waitcnt vmcnt(5)
	v_sub_f32_e32 v38, v38, v5
	v_fmac_f32_e32 v29, v28, v28
	v_sub_f32_e32 v33, v33, v6
	v_sub_f32_e32 v36, v36, v6
	;; [unrolled: 1-line block ×3, first 2 shown]
	v_mul_f32_e32 v38, v38, v38
	v_fmac_f32_e32 v32, v31, v31
	v_fmac_f32_e32 v35, v34, v34
	v_fmac_f32_e32 v29, v30, v30
	s_waitcnt vmcnt(4)
	v_sub_f32_e32 v39, v39, v6
	v_fmac_f32_e32 v38, v37, v37
	v_fmac_f32_e32 v32, v33, v33
	;; [unrolled: 1-line block ×3, first 2 shown]
	v_mul_f32_e32 v28, 0x4f800000, v29
	v_cmp_gt_f32_e64 s[14:15], s52, v29
	v_fmac_f32_e32 v38, v39, v39
	v_mul_f32_e32 v30, 0x4f800000, v32
	v_cmp_gt_f32_e64 s[16:17], s52, v32
	v_mul_f32_e32 v31, 0x4f800000, v35
	v_cmp_gt_f32_e64 s[18:19], s52, v35
	v_cndmask_b32_e64 v28, v29, v28, s[14:15]
	v_mul_f32_e32 v33, 0x4f800000, v38
	v_cmp_gt_f32_e64 s[20:21], s52, v38
	v_cndmask_b32_e64 v29, v32, v30, s[16:17]
	v_cndmask_b32_e64 v30, v35, v31, s[18:19]
	v_sqrt_f32_e32 v32, v28
	v_cndmask_b32_e64 v31, v38, v33, s[20:21]
	v_sqrt_f32_e32 v33, v29
	v_sqrt_f32_e32 v34, v30
	;; [unrolled: 1-line block ×3, first 2 shown]
	v_add_u32_e32 v36, -1, v32
	v_add_u32_e32 v37, 1, v32
	v_add_u32_e32 v38, -1, v33
	v_add_u32_e32 v40, -1, v34
	v_fma_f32 v44, -v36, v32, v28
	v_add_u32_e32 v39, 1, v33
	v_add_u32_e32 v41, 1, v34
	v_add_u32_e32 v42, -1, v35
	v_fma_f32 v45, -v37, v32, v28
	v_fma_f32 v46, -v38, v33, v29
	;; [unrolled: 1-line block ×3, first 2 shown]
	v_cmp_ge_f32_e64 s[28:29], 0, v44
	v_add_u32_e32 v43, 1, v35
	v_fma_f32 v47, -v39, v33, v29
	v_fma_f32 v49, -v41, v34, v30
	v_fma_f32 v50, -v42, v35, v31
	v_cmp_ge_f32_e64 s[22:23], 0, v46
	v_cmp_ge_f32_e64 s[24:25], 0, v48
	v_cndmask_b32_e64 v32, v32, v36, s[28:29]
	v_cmp_lt_f32_e64 s[28:29], 0, v45
	v_fma_f32 v51, -v43, v35, v31
	v_cndmask_b32_e64 v33, v33, v38, s[22:23]
	v_cmp_lt_f32_e64 s[22:23], 0, v47
	v_cndmask_b32_e64 v34, v34, v40, s[24:25]
	v_cmp_lt_f32_e64 s[24:25], 0, v49
	v_cmp_ge_f32_e64 s[26:27], 0, v50
	v_cndmask_b32_e64 v32, v32, v37, s[28:29]
	v_cndmask_b32_e64 v35, v35, v42, s[26:27]
	v_cmp_lt_f32_e64 s[26:27], 0, v51
	v_cndmask_b32_e64 v33, v33, v39, s[22:23]
	v_cndmask_b32_e64 v34, v34, v41, s[24:25]
	v_mul_f32_e32 v36, 0x37800000, v32
	v_cndmask_b32_e64 v35, v35, v43, s[26:27]
	v_mul_f32_e32 v37, 0x37800000, v33
	v_mul_f32_e32 v38, 0x37800000, v34
	v_cndmask_b32_e64 v32, v32, v36, s[14:15]
	v_cmp_class_f32_e64 s[14:15], v28, v10
	v_mul_f32_e32 v39, 0x37800000, v35
	v_cndmask_b32_e64 v33, v33, v37, s[16:17]
	v_cmp_class_f32_e64 s[16:17], v29, v10
	v_cndmask_b32_e64 v34, v34, v38, s[18:19]
	v_cmp_class_f32_e64 s[18:19], v30, v10
	v_cndmask_b32_e64 v28, v32, v28, s[14:15]
	v_cndmask_b32_e64 v35, v35, v39, s[20:21]
	v_cmp_class_f32_e64 s[20:21], v31, v10
	v_cndmask_b32_e64 v29, v33, v29, s[16:17]
	v_cndmask_b32_e64 v30, v34, v30, s[18:19]
	v_sub_f32_e32 v32, v28, v7
	v_cndmask_b32_e64 v31, v35, v31, s[20:21]
	v_sub_f32_e32 v33, v29, v7
	v_sub_f32_e32 v34, v30, v7
	v_cmp_gt_f32_e64 s[22:23], 0, v32
	v_cmp_lt_f32_e64 s[24:25], v32, v18
	v_fma_f32 v28, -v21, v28, 1.0
	v_sub_f32_e32 v35, v31, v7
	v_fma_f32 v36, -v19, v32, 1.0
	v_fma_f32 v37, -v22, v32, 1.0
	v_cmp_lt_f32_e64 s[14:15], v32, v16
	v_cndmask_b32_e64 v44, 0, v14, s[22:23]
	v_cndmask_b32_e64 v32, 0, 1.0, s[24:25]
	v_cmp_gt_f32_e64 s[24:25], 0, v33
	v_cmp_lt_f32_e64 s[26:27], v33, v18
	v_cmp_lt_f32_e64 s[28:29], v34, v18
	v_fma_f32 v29, -v21, v29, 1.0
	v_fma_f32 v38, -v19, v33, 1.0
	v_fma_f32 v39, -v22, v33, 1.0
	v_cmp_lt_f32_e64 s[16:17], v33, v16
	v_fma_f32 v40, -v19, v34, 1.0
	v_fma_f32 v41, -v22, v34, 1.0
	v_cmp_lt_f32_e64 s[18:19], v34, v16
	v_fma_f32 v42, -v19, v35, 1.0
	v_cndmask_b32_e64 v45, 0, v14, s[24:25]
	v_cndmask_b32_e64 v33, 0, 1.0, s[26:27]
	v_cmp_gt_f32_e64 s[26:27], 0, v34
	v_cndmask_b32_e64 v34, 0, 1.0, s[28:29]
	v_cmp_gt_f32_e64 s[28:29], 0, v35
	v_cmp_lt_f32_e64 s[30:31], v35, v18
	s_waitcnt vmcnt(3)
	v_fmac_f32_e32 v24, v28, v44
	v_cndmask_b32_e64 v28, v36, 1.0, s[22:23]
	s_and_b64 s[14:15], vcc, s[14:15]
	v_fma_f32 v43, -v22, v35, 1.0
	v_cmp_lt_f32_e64 s[20:21], v35, v16
	v_cndmask_b32_e64 v35, 0, 1.0, s[30:31]
	v_cndmask_b32_e64 v36, v37, 1.0, s[22:23]
	;; [unrolled: 1-line block ×7, first 2 shown]
	s_waitcnt vmcnt(2)
	v_fmac_f32_e32 v25, v29, v45
	v_cndmask_b32_e64 v29, 0, 1.0, s[14:15]
	s_and_b64 s[14:15], vcc, s[16:17]
	v_mul_f32_e32 v28, v32, v28
	v_fma_f32 v30, -v21, v30, 1.0
	v_cndmask_b32_e64 v46, 0, v14, s[26:27]
	v_cndmask_b32_e64 v42, v43, 1.0, s[28:29]
	v_cndmask_b32_e64 v43, 0, 1.0, s[14:15]
	s_and_b64 s[14:15], vcc, s[18:19]
	v_mul_f32_e32 v32, v33, v37
	v_mul_f32_e32 v33, v34, v39
	v_mul_f32_e32 v34, v35, v41
	v_mul_f32_e32 v28, v17, v28
	v_fma_f32 v31, -v21, v31, 1.0
	v_cndmask_b32_e64 v47, 0, v14, s[28:29]
	s_waitcnt vmcnt(1)
	v_fmac_f32_e32 v26, v30, v46
	v_cndmask_b32_e64 v30, 0, 1.0, s[14:15]
	s_and_b64 s[14:15], vcc, s[20:21]
	v_mul_f32_e32 v32, v17, v32
	v_mul_f32_e32 v33, v17, v33
	;; [unrolled: 1-line block ×3, first 2 shown]
	v_cndmask_b32_e64 v28, v28, -|v28|, s[46:47]
	s_waitcnt vmcnt(0)
	v_fmac_f32_e32 v27, v31, v47
	v_cndmask_b32_e64 v31, 0, 1.0, s[14:15]
	v_mul_f32_e32 v29, v20, v29
	v_cndmask_b32_e64 v32, v32, -|v32|, s[46:47]
	v_cndmask_b32_e64 v33, v33, -|v33|, s[46:47]
	;; [unrolled: 1-line block ×3, first 2 shown]
	v_fmac_f32_e32 v24, 0x42340000, v28
	s_cmpk_eq_i32 s53, 0x200
	v_mul_f32_e32 v35, v20, v43
	v_mul_f32_e32 v30, v20, v30
	;; [unrolled: 1-line block ×3, first 2 shown]
	v_fmac_f32_e32 v25, 0x42340000, v32
	v_fmac_f32_e32 v26, 0x42340000, v33
	;; [unrolled: 1-line block ×7, first 2 shown]
	buffer_store_dword v24, v23, s[0:3], 0 offen
	buffer_store_dword v25, v23, s[0:3], 0 offen offset:4
	buffer_store_dword v26, v23, s[0:3], 0 offen offset:8
	;; [unrolled: 1-line block ×3, first 2 shown]
	s_cbranch_scc0 .LBB7_31
; %bb.32:                               ;   in Loop: Header=BB7_30 Depth=2
	s_add_i32 s34, s34, 1
	s_cmp_eq_u32 s34, s48
	s_cbranch_scc0 .LBB7_30
; %bb.33:                               ;   in Loop: Header=BB7_27 Depth=1
	s_add_i32 s44, s44, 1
	s_cmp_lg_u32 s44, s49
	s_cbranch_scc1 .LBB7_27
; %bb.34:
	s_and_saveexec_b64 s[4:5], s[6:7]
	s_cbranch_execz .LBB7_36
; %bb.35:
	buffer_load_dword v1, off, s[0:3], 0 offset:16
	buffer_load_dword v2, off, s[0:3], 0 offset:20
	;; [unrolled: 1-line block ×16, first 2 shown]
	v_mov_b32_e32 v9, 0
	v_lshlrev_b64 v[24:25], 2, v[8:9]
	v_add_u32_e32 v8, s33, v8
	v_mov_b32_e32 v13, s41
	v_lshlrev_b64 v[26:27], 2, v[8:9]
	v_add_co_u32_e32 v24, vcc, s40, v24
	v_add_u32_e32 v8, s33, v8
	v_addc_co_u32_e32 v25, vcc, v13, v25, vcc
	v_mov_b32_e32 v15, s41
	v_lshlrev_b64 v[28:29], 2, v[8:9]
	v_add_co_u32_e32 v26, vcc, s40, v26
	v_add_u32_e32 v8, s33, v8
	v_addc_co_u32_e32 v27, vcc, v15, v27, vcc
	;; [unrolled: 5-line block ×6, first 2 shown]
	v_mov_b32_e32 v40, s41
	v_lshlrev_b64 v[38:39], 2, v[8:9]
	v_add_co_u32_e32 v36, vcc, s40, v36
	v_addc_co_u32_e32 v37, vcc, v40, v37, vcc
	v_add_u32_e32 v8, s33, v8
	s_waitcnt vmcnt(15)
	v_mul_f32_e32 v1, 0.5, v1
	s_waitcnt vmcnt(14)
	v_mul_f32_e32 v2, 0.5, v2
	;; [unrolled: 2-line block ×7, first 2 shown]
	global_store_dword v[24:25], v1, off
	global_store_dword v[26:27], v2, off
	;; [unrolled: 1-line block ×7, first 2 shown]
	v_mov_b32_e32 v2, s41
	v_add_co_u32_e32 v1, vcc, s40, v38
	s_waitcnt vmcnt(15)
	v_mul_f32_e32 v10, 0.5, v10
	v_addc_co_u32_e32 v2, vcc, v2, v39, vcc
	global_store_dword v[1:2], v10, off
	v_lshlrev_b64 v[1:2], 2, v[8:9]
	v_mov_b32_e32 v4, s41
	v_add_co_u32_e32 v1, vcc, s40, v1
	s_waitcnt vmcnt(15)
	v_mul_f32_e32 v3, 0.5, v0
	buffer_load_dword v0, off, s[0:3], 0 offset:80
	v_addc_co_u32_e32 v2, vcc, v4, v2, vcc
	global_store_dword v[1:2], v3, off
	buffer_load_dword v1, off, s[0:3], 0 offset:84
	v_add_u32_e32 v8, s33, v8
	v_lshlrev_b64 v[2:3], 2, v[8:9]
	v_mov_b32_e32 v5, s41
	v_add_co_u32_e32 v2, vcc, s40, v2
	s_waitcnt vmcnt(17)
	v_mul_f32_e32 v4, 0.5, v22
	v_addc_co_u32_e32 v3, vcc, v5, v3, vcc
	v_add_u32_e32 v8, s33, v8
	global_store_dword v[2:3], v4, off
	v_lshlrev_b64 v[3:4], 2, v[8:9]
	buffer_load_dword v2, off, s[0:3], 0 offset:88
	v_mov_b32_e32 v6, s41
	v_add_co_u32_e32 v3, vcc, s40, v3
	s_waitcnt vmcnt(18)
	v_mul_f32_e32 v5, 0.5, v20
	v_addc_co_u32_e32 v4, vcc, v6, v4, vcc
	global_store_dword v[3:4], v5, off
	buffer_load_dword v3, off, s[0:3], 0 offset:92
	v_add_u32_e32 v8, s33, v8
	v_lshlrev_b64 v[4:5], 2, v[8:9]
	v_mov_b32_e32 v7, s41
	v_add_co_u32_e32 v4, vcc, s40, v4
	s_waitcnt vmcnt(19)
	v_mul_f32_e32 v6, 0.5, v18
	v_addc_co_u32_e32 v5, vcc, v7, v5, vcc
	v_add_u32_e32 v8, s33, v8
	global_store_dword v[4:5], v6, off
	buffer_load_dword v4, off, s[0:3], 0 offset:96
	v_lshlrev_b64 v[5:6], 2, v[8:9]
	v_mov_b32_e32 v10, s41
	v_add_co_u32_e32 v5, vcc, s40, v5
	s_waitcnt vmcnt(20)
	v_mul_f32_e32 v7, 0.5, v16
	v_addc_co_u32_e32 v6, vcc, v10, v6, vcc
	v_add_u32_e32 v8, s33, v8
	global_store_dword v[5:6], v7, off
	buffer_load_dword v5, off, s[0:3], 0 offset:100
	v_lshlrev_b64 v[6:7], 2, v[8:9]
	s_waitcnt vmcnt(21)
	v_mul_f32_e32 v10, 0.5, v14
	v_add_co_u32_e32 v6, vcc, s40, v6
	v_addc_co_u32_e32 v7, vcc, v13, v7, vcc
	v_add_u32_e32 v8, s33, v8
	global_store_dword v[6:7], v10, off
	s_waitcnt vmcnt(21)
	v_mul_f32_e32 v7, 0.5, v12
	buffer_load_dword v6, off, s[0:3], 0 offset:104
	v_lshlrev_b64 v[12:13], 2, v[8:9]
	v_mov_b32_e32 v10, s41
	v_add_co_u32_e32 v12, vcc, s40, v12
	v_addc_co_u32_e32 v13, vcc, v10, v13, vcc
	v_add_u32_e32 v8, s33, v8
	global_store_dword v[12:13], v7, off
	s_waitcnt vmcnt(22)
	v_mul_f32_e32 v12, 0.5, v11
	buffer_load_dword v7, off, s[0:3], 0 offset:108
	v_lshlrev_b64 v[10:11], 2, v[8:9]
	v_mov_b32_e32 v13, s41
	v_add_co_u32_e32 v10, vcc, s40, v10
	v_addc_co_u32_e32 v11, vcc, v13, v11, vcc
	global_store_dword v[10:11], v12, off
	buffer_load_dword v10, off, s[0:3], 0 offset:112
	v_add_u32_e32 v8, s33, v8
	v_lshlrev_b64 v[11:12], 2, v[8:9]
	v_add_u32_e32 v8, s33, v8
	v_add_co_u32_e32 v11, vcc, s40, v11
	v_addc_co_u32_e32 v12, vcc, v13, v12, vcc
	s_waitcnt vmcnt(16)
	v_mul_f32_e32 v0, 0.5, v0
	global_store_dword v[11:12], v0, off
	buffer_load_dword v11, off, s[0:3], 0 offset:116
	s_waitcnt vmcnt(16)
	v_mul_f32_e32 v12, 0.5, v1
	v_lshlrev_b64 v[0:1], 2, v[8:9]
	v_add_u32_e32 v8, s33, v8
	v_add_co_u32_e32 v0, vcc, s40, v0
	v_addc_co_u32_e32 v1, vcc, v13, v1, vcc
	global_store_dword v[0:1], v12, off
	buffer_load_dword v12, off, s[0:3], 0 offset:120
	v_lshlrev_b64 v[0:1], 2, v[8:9]
	v_add_u32_e32 v8, s33, v8
	v_add_co_u32_e32 v0, vcc, s40, v0
	v_addc_co_u32_e32 v1, vcc, v13, v1, vcc
	buffer_load_dword v13, off, s[0:3], 0 offset:124
	buffer_load_dword v14, off, s[0:3], 0 offset:128
	;; [unrolled: 1-line block ×5, first 2 shown]
	s_waitcnt vmcnt(21)
	v_mul_f32_e32 v2, 0.5, v2
	global_store_dword v[0:1], v2, off
	v_lshlrev_b64 v[0:1], 2, v[8:9]
	s_waitcnt vmcnt(20)
	v_mul_f32_e32 v2, 0.5, v3
	v_mov_b32_e32 v3, s41
	v_add_co_u32_e32 v0, vcc, s40, v0
	v_addc_co_u32_e32 v1, vcc, v3, v1, vcc
	v_add_u32_e32 v8, s33, v8
	global_store_dword v[0:1], v2, off
	v_lshlrev_b64 v[0:1], 2, v[8:9]
	s_waitcnt vmcnt(19)
	v_mul_f32_e32 v2, 0.5, v4
	v_add_co_u32_e32 v0, vcc, s40, v0
	v_addc_co_u32_e32 v1, vcc, v3, v1, vcc
	v_add_u32_e32 v8, s33, v8
	global_store_dword v[0:1], v2, off
	v_lshlrev_b64 v[0:1], 2, v[8:9]
	v_add_u32_e32 v8, s33, v8
	v_add_co_u32_e32 v0, vcc, s40, v0
	s_waitcnt vmcnt(18)
	v_mul_f32_e32 v2, 0.5, v5
	v_addc_co_u32_e32 v1, vcc, v3, v1, vcc
	global_store_dword v[0:1], v2, off
	v_lshlrev_b64 v[0:1], 2, v[8:9]
	v_add_u32_e32 v8, s33, v8
	v_add_co_u32_e32 v0, vcc, s40, v0
	s_waitcnt vmcnt(17)
	v_mul_f32_e32 v2, 0.5, v6
	v_addc_co_u32_e32 v1, vcc, v3, v1, vcc
	global_store_dword v[0:1], v2, off
	v_lshlrev_b64 v[0:1], 2, v[8:9]
	v_add_u32_e32 v8, s33, v8
	v_add_co_u32_e32 v0, vcc, s40, v0
	v_addc_co_u32_e32 v1, vcc, v3, v1, vcc
	s_waitcnt vmcnt(16)
	v_mul_f32_e32 v2, 0.5, v7
	global_store_dword v[0:1], v2, off
	v_lshlrev_b64 v[1:2], 2, v[8:9]
	v_mov_b32_e32 v4, s41
	v_add_co_u32_e32 v1, vcc, s40, v1
	buffer_load_dword v0, off, s[0:3], 0 offset:144
	v_addc_co_u32_e32 v2, vcc, v4, v2, vcc
	s_waitcnt vmcnt(16)
	v_mul_f32_e32 v3, 0.5, v10
	global_store_dword v[1:2], v3, off
	buffer_load_dword v1, off, s[0:3], 0 offset:148
	v_add_u32_e32 v8, s33, v8
	v_lshlrev_b64 v[2:3], 2, v[8:9]
	v_mov_b32_e32 v5, s41
	v_add_co_u32_e32 v2, vcc, s40, v2
	v_addc_co_u32_e32 v3, vcc, v5, v3, vcc
	s_waitcnt vmcnt(16)
	v_mul_f32_e32 v4, 0.5, v11
	v_add_u32_e32 v8, s33, v8
	global_store_dword v[2:3], v4, off
	v_lshlrev_b64 v[3:4], 2, v[8:9]
	buffer_load_dword v2, off, s[0:3], 0 offset:152
	v_mov_b32_e32 v6, s41
	v_add_co_u32_e32 v3, vcc, s40, v3
	s_waitcnt vmcnt(16)
	v_mul_f32_e32 v5, 0.5, v12
	v_addc_co_u32_e32 v4, vcc, v6, v4, vcc
	global_store_dword v[3:4], v5, off
	buffer_load_dword v3, off, s[0:3], 0 offset:156
	v_add_u32_e32 v8, s33, v8
	v_lshlrev_b64 v[4:5], 2, v[8:9]
	v_mov_b32_e32 v7, s41
	v_add_co_u32_e32 v4, vcc, s40, v4
	s_waitcnt vmcnt(17)
	v_mul_f32_e32 v6, 0.5, v13
	v_addc_co_u32_e32 v5, vcc, v7, v5, vcc
	v_add_u32_e32 v8, s33, v8
	global_store_dword v[4:5], v6, off
	buffer_load_dword v4, off, s[0:3], 0 offset:160
	v_lshlrev_b64 v[5:6], 2, v[8:9]
	v_mov_b32_e32 v10, s41
	v_add_co_u32_e32 v5, vcc, s40, v5
	s_waitcnt vmcnt(18)
	v_mul_f32_e32 v7, 0.5, v14
	v_addc_co_u32_e32 v6, vcc, v10, v6, vcc
	v_add_u32_e32 v8, s33, v8
	global_store_dword v[5:6], v7, off
	buffer_load_dword v5, off, s[0:3], 0 offset:164
	;; [unrolled: 9-line block ×4, first 2 shown]
	v_lshlrev_b64 v[10:11], 2, v[8:9]
	v_mov_b32_e32 v13, s41
	v_add_co_u32_e32 v10, vcc, s40, v10
	s_waitcnt vmcnt(21)
	v_mul_f32_e32 v12, 0.5, v17
	v_addc_co_u32_e32 v11, vcc, v13, v11, vcc
	global_store_dword v[10:11], v12, off
	buffer_load_dword v10, off, s[0:3], 0 offset:176
	v_add_u32_e32 v8, s33, v8
	v_lshlrev_b64 v[11:12], 2, v[8:9]
	v_add_u32_e32 v8, s33, v8
	v_add_co_u32_e32 v11, vcc, s40, v11
	s_waitcnt vmcnt(16)
	v_mul_f32_e32 v0, 0.5, v0
	v_addc_co_u32_e32 v12, vcc, v13, v12, vcc
	global_store_dword v[11:12], v0, off
	buffer_load_dword v11, off, s[0:3], 0 offset:180
	s_waitcnt vmcnt(16)
	v_mul_f32_e32 v12, 0.5, v1
	v_lshlrev_b64 v[0:1], 2, v[8:9]
	v_add_u32_e32 v8, s33, v8
	v_add_co_u32_e32 v0, vcc, s40, v0
	v_addc_co_u32_e32 v1, vcc, v13, v1, vcc
	global_store_dword v[0:1], v12, off
	buffer_load_dword v12, off, s[0:3], 0 offset:184
	v_lshlrev_b64 v[0:1], 2, v[8:9]
	buffer_load_dword v14, off, s[0:3], 0 offset:192
	buffer_load_dword v15, off, s[0:3], 0 offset:196
	;; [unrolled: 1-line block ×4, first 2 shown]
	v_add_co_u32_e32 v0, vcc, s40, v0
	v_addc_co_u32_e32 v1, vcc, v13, v1, vcc
	buffer_load_dword v13, off, s[0:3], 0 offset:188
	s_waitcnt vmcnt(21)
	v_mul_f32_e32 v2, 0.5, v2
	v_add_u32_e32 v8, s33, v8
	global_store_dword v[0:1], v2, off
	v_lshlrev_b64 v[0:1], 2, v[8:9]
	s_waitcnt vmcnt(20)
	v_mul_f32_e32 v2, 0.5, v3
	v_mov_b32_e32 v3, s41
	v_add_co_u32_e32 v0, vcc, s40, v0
	v_addc_co_u32_e32 v1, vcc, v3, v1, vcc
	v_add_u32_e32 v8, s33, v8
	global_store_dword v[0:1], v2, off
	v_lshlrev_b64 v[0:1], 2, v[8:9]
	s_waitcnt vmcnt(19)
	v_mul_f32_e32 v2, 0.5, v4
	v_add_co_u32_e32 v0, vcc, s40, v0
	v_addc_co_u32_e32 v1, vcc, v3, v1, vcc
	v_add_u32_e32 v8, s33, v8
	global_store_dword v[0:1], v2, off
	v_lshlrev_b64 v[0:1], 2, v[8:9]
	s_waitcnt vmcnt(18)
	v_mul_f32_e32 v2, 0.5, v5
	v_add_co_u32_e32 v0, vcc, s40, v0
	v_addc_co_u32_e32 v1, vcc, v3, v1, vcc
	v_add_u32_e32 v8, s33, v8
	global_store_dword v[0:1], v2, off
	v_lshlrev_b64 v[0:1], 2, v[8:9]
	v_add_u32_e32 v8, s33, v8
	v_add_co_u32_e32 v0, vcc, s40, v0
	s_waitcnt vmcnt(17)
	v_mul_f32_e32 v2, 0.5, v6
	v_addc_co_u32_e32 v1, vcc, v3, v1, vcc
	global_store_dword v[0:1], v2, off
	v_lshlrev_b64 v[0:1], 2, v[8:9]
	v_add_u32_e32 v8, s33, v8
	v_add_co_u32_e32 v0, vcc, s40, v0
	v_addc_co_u32_e32 v1, vcc, v3, v1, vcc
	s_waitcnt vmcnt(16)
	v_mul_f32_e32 v2, 0.5, v7
	global_store_dword v[0:1], v2, off
	v_lshlrev_b64 v[1:2], 2, v[8:9]
	v_mov_b32_e32 v4, s41
	v_add_co_u32_e32 v1, vcc, s40, v1
	buffer_load_dword v0, off, s[0:3], 0 offset:208
	v_addc_co_u32_e32 v2, vcc, v4, v2, vcc
	s_waitcnt vmcnt(16)
	v_mul_f32_e32 v3, 0.5, v10
	global_store_dword v[1:2], v3, off
	buffer_load_dword v1, off, s[0:3], 0 offset:212
	v_add_u32_e32 v8, s33, v8
	v_lshlrev_b64 v[2:3], 2, v[8:9]
	v_mov_b32_e32 v5, s41
	v_add_co_u32_e32 v2, vcc, s40, v2
	v_addc_co_u32_e32 v3, vcc, v5, v3, vcc
	s_waitcnt vmcnt(16)
	v_mul_f32_e32 v4, 0.5, v11
	v_add_u32_e32 v8, s33, v8
	global_store_dword v[2:3], v4, off
	v_lshlrev_b64 v[3:4], 2, v[8:9]
	buffer_load_dword v2, off, s[0:3], 0 offset:216
	v_mov_b32_e32 v6, s41
	v_add_co_u32_e32 v3, vcc, s40, v3
	s_waitcnt vmcnt(16)
	v_mul_f32_e32 v5, 0.5, v12
	v_addc_co_u32_e32 v4, vcc, v6, v4, vcc
	global_store_dword v[3:4], v5, off
	buffer_load_dword v3, off, s[0:3], 0 offset:220
	v_add_u32_e32 v8, s33, v8
	v_lshlrev_b64 v[4:5], 2, v[8:9]
	v_mov_b32_e32 v7, s41
	v_add_co_u32_e32 v4, vcc, s40, v4
	s_waitcnt vmcnt(13)
	v_mul_f32_e32 v6, 0.5, v13
	v_addc_co_u32_e32 v5, vcc, v7, v5, vcc
	v_add_u32_e32 v8, s33, v8
	global_store_dword v[4:5], v6, off
	buffer_load_dword v4, off, s[0:3], 0 offset:224
	v_lshlrev_b64 v[5:6], 2, v[8:9]
	v_mov_b32_e32 v10, s41
	v_add_co_u32_e32 v5, vcc, s40, v5
	v_mul_f32_e32 v7, 0.5, v14
	v_addc_co_u32_e32 v6, vcc, v10, v6, vcc
	v_add_u32_e32 v8, s33, v8
	global_store_dword v[5:6], v7, off
	buffer_load_dword v5, off, s[0:3], 0 offset:228
	v_lshlrev_b64 v[6:7], 2, v[8:9]
	v_mov_b32_e32 v11, s41
	v_add_co_u32_e32 v6, vcc, s40, v6
	;; [unrolled: 8-line block ×4, first 2 shown]
	v_mul_f32_e32 v12, 0.5, v17
	v_addc_co_u32_e32 v11, vcc, v13, v11, vcc
	global_store_dword v[10:11], v12, off
	buffer_load_dword v10, off, s[0:3], 0 offset:240
	v_add_u32_e32 v8, s33, v8
	v_lshlrev_b64 v[11:12], 2, v[8:9]
	v_add_u32_e32 v8, s33, v8
	v_add_co_u32_e32 v11, vcc, s40, v11
	s_waitcnt vmcnt(16)
	v_mul_f32_e32 v0, 0.5, v0
	v_addc_co_u32_e32 v12, vcc, v13, v12, vcc
	global_store_dword v[11:12], v0, off
	buffer_load_dword v11, off, s[0:3], 0 offset:244
	s_waitcnt vmcnt(16)
	v_mul_f32_e32 v12, 0.5, v1
	v_lshlrev_b64 v[0:1], 2, v[8:9]
	v_add_u32_e32 v8, s33, v8
	v_add_co_u32_e32 v0, vcc, s40, v0
	v_addc_co_u32_e32 v1, vcc, v13, v1, vcc
	global_store_dword v[0:1], v12, off
	buffer_load_dword v12, off, s[0:3], 0 offset:248
	v_lshlrev_b64 v[0:1], 2, v[8:9]
	v_add_u32_e32 v8, s33, v8
	v_add_co_u32_e32 v0, vcc, s40, v0
	v_addc_co_u32_e32 v1, vcc, v13, v1, vcc
	buffer_load_dword v13, off, s[0:3], 0 offset:252
	buffer_load_dword v14, off, s[0:3], 0 offset:256
	;; [unrolled: 1-line block ×5, first 2 shown]
	s_waitcnt vmcnt(21)
	v_mul_f32_e32 v2, 0.5, v2
	global_store_dword v[0:1], v2, off
	v_lshlrev_b64 v[0:1], 2, v[8:9]
	s_waitcnt vmcnt(20)
	v_mul_f32_e32 v2, 0.5, v3
	v_mov_b32_e32 v3, s41
	v_add_co_u32_e32 v0, vcc, s40, v0
	v_addc_co_u32_e32 v1, vcc, v3, v1, vcc
	v_add_u32_e32 v8, s33, v8
	global_store_dword v[0:1], v2, off
	v_lshlrev_b64 v[0:1], 2, v[8:9]
	s_waitcnt vmcnt(19)
	v_mul_f32_e32 v2, 0.5, v4
	v_add_co_u32_e32 v0, vcc, s40, v0
	v_addc_co_u32_e32 v1, vcc, v3, v1, vcc
	v_add_u32_e32 v8, s33, v8
	global_store_dword v[0:1], v2, off
	v_lshlrev_b64 v[0:1], 2, v[8:9]
	s_waitcnt vmcnt(18)
	v_mul_f32_e32 v2, 0.5, v5
	v_add_co_u32_e32 v0, vcc, s40, v0
	v_addc_co_u32_e32 v1, vcc, v3, v1, vcc
	v_add_u32_e32 v8, s33, v8
	global_store_dword v[0:1], v2, off
	v_lshlrev_b64 v[0:1], 2, v[8:9]
	v_add_u32_e32 v8, s33, v8
	v_add_co_u32_e32 v0, vcc, s40, v0
	s_waitcnt vmcnt(17)
	v_mul_f32_e32 v2, 0.5, v6
	v_addc_co_u32_e32 v1, vcc, v3, v1, vcc
	global_store_dword v[0:1], v2, off
	v_lshlrev_b64 v[0:1], 2, v[8:9]
	v_add_u32_e32 v8, s33, v8
	v_add_co_u32_e32 v0, vcc, s40, v0
	v_addc_co_u32_e32 v1, vcc, v3, v1, vcc
	s_waitcnt vmcnt(16)
	v_mul_f32_e32 v2, 0.5, v7
	global_store_dword v[0:1], v2, off
	v_lshlrev_b64 v[1:2], 2, v[8:9]
	v_mov_b32_e32 v4, s41
	v_add_co_u32_e32 v1, vcc, s40, v1
	buffer_load_dword v0, off, s[0:3], 0 offset:272
	v_addc_co_u32_e32 v2, vcc, v4, v2, vcc
	s_waitcnt vmcnt(16)
	v_mul_f32_e32 v3, 0.5, v10
	global_store_dword v[1:2], v3, off
	buffer_load_dword v1, off, s[0:3], 0 offset:276
	v_add_u32_e32 v8, s33, v8
	v_lshlrev_b64 v[2:3], 2, v[8:9]
	v_mov_b32_e32 v5, s41
	v_add_co_u32_e32 v2, vcc, s40, v2
	v_addc_co_u32_e32 v3, vcc, v5, v3, vcc
	s_waitcnt vmcnt(16)
	v_mul_f32_e32 v4, 0.5, v11
	v_add_u32_e32 v8, s33, v8
	global_store_dword v[2:3], v4, off
	v_lshlrev_b64 v[3:4], 2, v[8:9]
	buffer_load_dword v2, off, s[0:3], 0 offset:280
	v_mov_b32_e32 v6, s41
	v_add_co_u32_e32 v3, vcc, s40, v3
	s_waitcnt vmcnt(16)
	v_mul_f32_e32 v5, 0.5, v12
	v_addc_co_u32_e32 v4, vcc, v6, v4, vcc
	global_store_dword v[3:4], v5, off
	buffer_load_dword v3, off, s[0:3], 0 offset:284
	v_add_u32_e32 v8, s33, v8
	v_lshlrev_b64 v[4:5], 2, v[8:9]
	v_mov_b32_e32 v7, s41
	v_add_co_u32_e32 v4, vcc, s40, v4
	s_waitcnt vmcnt(17)
	v_mul_f32_e32 v6, 0.5, v13
	v_addc_co_u32_e32 v5, vcc, v7, v5, vcc
	v_add_u32_e32 v8, s33, v8
	global_store_dword v[4:5], v6, off
	buffer_load_dword v4, off, s[0:3], 0 offset:288
	v_lshlrev_b64 v[5:6], 2, v[8:9]
	v_mov_b32_e32 v10, s41
	v_add_co_u32_e32 v5, vcc, s40, v5
	s_waitcnt vmcnt(18)
	v_mul_f32_e32 v7, 0.5, v14
	v_addc_co_u32_e32 v6, vcc, v10, v6, vcc
	v_add_u32_e32 v8, s33, v8
	global_store_dword v[5:6], v7, off
	buffer_load_dword v5, off, s[0:3], 0 offset:292
	;; [unrolled: 9-line block ×4, first 2 shown]
	v_lshlrev_b64 v[10:11], 2, v[8:9]
	v_mov_b32_e32 v13, s41
	v_add_co_u32_e32 v10, vcc, s40, v10
	s_waitcnt vmcnt(21)
	v_mul_f32_e32 v12, 0.5, v17
	v_addc_co_u32_e32 v11, vcc, v13, v11, vcc
	global_store_dword v[10:11], v12, off
	buffer_load_dword v10, off, s[0:3], 0 offset:304
	v_add_u32_e32 v8, s33, v8
	v_lshlrev_b64 v[11:12], 2, v[8:9]
	v_add_u32_e32 v8, s33, v8
	v_add_co_u32_e32 v11, vcc, s40, v11
	s_waitcnt vmcnt(16)
	v_mul_f32_e32 v0, 0.5, v0
	v_addc_co_u32_e32 v12, vcc, v13, v12, vcc
	global_store_dword v[11:12], v0, off
	buffer_load_dword v11, off, s[0:3], 0 offset:308
	s_waitcnt vmcnt(16)
	v_mul_f32_e32 v12, 0.5, v1
	v_lshlrev_b64 v[0:1], 2, v[8:9]
	v_add_u32_e32 v8, s33, v8
	v_add_co_u32_e32 v0, vcc, s40, v0
	v_addc_co_u32_e32 v1, vcc, v13, v1, vcc
	global_store_dword v[0:1], v12, off
	buffer_load_dword v12, off, s[0:3], 0 offset:312
	v_lshlrev_b64 v[0:1], 2, v[8:9]
	buffer_load_dword v14, off, s[0:3], 0 offset:320
	buffer_load_dword v15, off, s[0:3], 0 offset:324
	;; [unrolled: 1-line block ×4, first 2 shown]
	v_add_co_u32_e32 v0, vcc, s40, v0
	v_addc_co_u32_e32 v1, vcc, v13, v1, vcc
	buffer_load_dword v13, off, s[0:3], 0 offset:316
	s_waitcnt vmcnt(21)
	v_mul_f32_e32 v2, 0.5, v2
	v_add_u32_e32 v8, s33, v8
	global_store_dword v[0:1], v2, off
	v_lshlrev_b64 v[0:1], 2, v[8:9]
	s_waitcnt vmcnt(20)
	v_mul_f32_e32 v2, 0.5, v3
	v_mov_b32_e32 v3, s41
	v_add_co_u32_e32 v0, vcc, s40, v0
	v_addc_co_u32_e32 v1, vcc, v3, v1, vcc
	v_add_u32_e32 v8, s33, v8
	global_store_dword v[0:1], v2, off
	v_lshlrev_b64 v[0:1], 2, v[8:9]
	s_waitcnt vmcnt(19)
	v_mul_f32_e32 v2, 0.5, v4
	v_add_co_u32_e32 v0, vcc, s40, v0
	v_addc_co_u32_e32 v1, vcc, v3, v1, vcc
	v_add_u32_e32 v8, s33, v8
	global_store_dword v[0:1], v2, off
	v_lshlrev_b64 v[0:1], 2, v[8:9]
	s_waitcnt vmcnt(18)
	v_mul_f32_e32 v2, 0.5, v5
	v_add_co_u32_e32 v0, vcc, s40, v0
	v_addc_co_u32_e32 v1, vcc, v3, v1, vcc
	v_add_u32_e32 v8, s33, v8
	global_store_dword v[0:1], v2, off
	v_lshlrev_b64 v[0:1], 2, v[8:9]
	v_add_u32_e32 v8, s33, v8
	v_add_co_u32_e32 v0, vcc, s40, v0
	s_waitcnt vmcnt(17)
	v_mul_f32_e32 v2, 0.5, v6
	v_addc_co_u32_e32 v1, vcc, v3, v1, vcc
	global_store_dword v[0:1], v2, off
	v_lshlrev_b64 v[0:1], 2, v[8:9]
	v_add_u32_e32 v8, s33, v8
	v_add_co_u32_e32 v0, vcc, s40, v0
	v_addc_co_u32_e32 v1, vcc, v3, v1, vcc
	s_waitcnt vmcnt(16)
	v_mul_f32_e32 v2, 0.5, v7
	global_store_dword v[0:1], v2, off
	v_lshlrev_b64 v[1:2], 2, v[8:9]
	v_mov_b32_e32 v4, s41
	v_add_co_u32_e32 v1, vcc, s40, v1
	buffer_load_dword v0, off, s[0:3], 0 offset:336
	v_addc_co_u32_e32 v2, vcc, v4, v2, vcc
	s_waitcnt vmcnt(16)
	v_mul_f32_e32 v3, 0.5, v10
	global_store_dword v[1:2], v3, off
	buffer_load_dword v1, off, s[0:3], 0 offset:340
	v_add_u32_e32 v8, s33, v8
	v_lshlrev_b64 v[2:3], 2, v[8:9]
	v_mov_b32_e32 v5, s41
	v_add_co_u32_e32 v2, vcc, s40, v2
	v_addc_co_u32_e32 v3, vcc, v5, v3, vcc
	s_waitcnt vmcnt(16)
	v_mul_f32_e32 v4, 0.5, v11
	v_add_u32_e32 v8, s33, v8
	global_store_dword v[2:3], v4, off
	v_lshlrev_b64 v[3:4], 2, v[8:9]
	buffer_load_dword v2, off, s[0:3], 0 offset:344
	v_mov_b32_e32 v6, s41
	v_add_co_u32_e32 v3, vcc, s40, v3
	s_waitcnt vmcnt(16)
	v_mul_f32_e32 v5, 0.5, v12
	v_addc_co_u32_e32 v4, vcc, v6, v4, vcc
	global_store_dword v[3:4], v5, off
	buffer_load_dword v3, off, s[0:3], 0 offset:348
	v_add_u32_e32 v8, s33, v8
	v_lshlrev_b64 v[4:5], 2, v[8:9]
	v_mov_b32_e32 v7, s41
	v_add_co_u32_e32 v4, vcc, s40, v4
	s_waitcnt vmcnt(13)
	v_mul_f32_e32 v6, 0.5, v13
	v_addc_co_u32_e32 v5, vcc, v7, v5, vcc
	v_add_u32_e32 v8, s33, v8
	global_store_dword v[4:5], v6, off
	buffer_load_dword v4, off, s[0:3], 0 offset:352
	v_lshlrev_b64 v[5:6], 2, v[8:9]
	v_mov_b32_e32 v10, s41
	v_add_co_u32_e32 v5, vcc, s40, v5
	v_mul_f32_e32 v7, 0.5, v14
	v_addc_co_u32_e32 v6, vcc, v10, v6, vcc
	v_add_u32_e32 v8, s33, v8
	global_store_dword v[5:6], v7, off
	buffer_load_dword v5, off, s[0:3], 0 offset:356
	v_lshlrev_b64 v[6:7], 2, v[8:9]
	v_mov_b32_e32 v11, s41
	v_add_co_u32_e32 v6, vcc, s40, v6
	;; [unrolled: 8-line block ×4, first 2 shown]
	v_mul_f32_e32 v12, 0.5, v17
	v_addc_co_u32_e32 v11, vcc, v13, v11, vcc
	global_store_dword v[10:11], v12, off
	buffer_load_dword v10, off, s[0:3], 0 offset:368
	v_add_u32_e32 v8, s33, v8
	v_lshlrev_b64 v[11:12], 2, v[8:9]
	v_add_u32_e32 v8, s33, v8
	v_add_co_u32_e32 v11, vcc, s40, v11
	s_waitcnt vmcnt(16)
	v_mul_f32_e32 v0, 0.5, v0
	v_addc_co_u32_e32 v12, vcc, v13, v12, vcc
	global_store_dword v[11:12], v0, off
	buffer_load_dword v11, off, s[0:3], 0 offset:372
	s_waitcnt vmcnt(16)
	v_mul_f32_e32 v12, 0.5, v1
	v_lshlrev_b64 v[0:1], 2, v[8:9]
	v_add_u32_e32 v8, s33, v8
	v_add_co_u32_e32 v0, vcc, s40, v0
	v_addc_co_u32_e32 v1, vcc, v13, v1, vcc
	global_store_dword v[0:1], v12, off
	buffer_load_dword v12, off, s[0:3], 0 offset:376
	v_lshlrev_b64 v[0:1], 2, v[8:9]
	v_add_u32_e32 v8, s33, v8
	v_add_co_u32_e32 v0, vcc, s40, v0
	v_addc_co_u32_e32 v1, vcc, v13, v1, vcc
	buffer_load_dword v13, off, s[0:3], 0 offset:380
	buffer_load_dword v14, off, s[0:3], 0 offset:384
	;; [unrolled: 1-line block ×5, first 2 shown]
	s_waitcnt vmcnt(21)
	v_mul_f32_e32 v2, 0.5, v2
	global_store_dword v[0:1], v2, off
	v_lshlrev_b64 v[0:1], 2, v[8:9]
	s_waitcnt vmcnt(20)
	v_mul_f32_e32 v2, 0.5, v3
	v_mov_b32_e32 v3, s41
	v_add_co_u32_e32 v0, vcc, s40, v0
	v_addc_co_u32_e32 v1, vcc, v3, v1, vcc
	v_add_u32_e32 v8, s33, v8
	global_store_dword v[0:1], v2, off
	v_lshlrev_b64 v[0:1], 2, v[8:9]
	s_waitcnt vmcnt(19)
	v_mul_f32_e32 v2, 0.5, v4
	v_add_co_u32_e32 v0, vcc, s40, v0
	v_addc_co_u32_e32 v1, vcc, v3, v1, vcc
	v_add_u32_e32 v8, s33, v8
	global_store_dword v[0:1], v2, off
	v_lshlrev_b64 v[0:1], 2, v[8:9]
	s_waitcnt vmcnt(18)
	v_mul_f32_e32 v2, 0.5, v5
	v_add_co_u32_e32 v0, vcc, s40, v0
	v_addc_co_u32_e32 v1, vcc, v3, v1, vcc
	v_add_u32_e32 v8, s33, v8
	global_store_dword v[0:1], v2, off
	v_lshlrev_b64 v[0:1], 2, v[8:9]
	v_add_u32_e32 v8, s33, v8
	v_add_co_u32_e32 v0, vcc, s40, v0
	s_waitcnt vmcnt(17)
	v_mul_f32_e32 v2, 0.5, v6
	v_addc_co_u32_e32 v1, vcc, v3, v1, vcc
	global_store_dword v[0:1], v2, off
	v_lshlrev_b64 v[0:1], 2, v[8:9]
	v_add_u32_e32 v8, s33, v8
	v_add_co_u32_e32 v0, vcc, s40, v0
	v_addc_co_u32_e32 v1, vcc, v3, v1, vcc
	s_waitcnt vmcnt(16)
	v_mul_f32_e32 v2, 0.5, v7
	global_store_dword v[0:1], v2, off
	v_lshlrev_b64 v[1:2], 2, v[8:9]
	buffer_load_dword v0, off, s[0:3], 0 offset:400
	v_mov_b32_e32 v4, s41
	v_add_co_u32_e32 v1, vcc, s40, v1
	v_addc_co_u32_e32 v2, vcc, v4, v2, vcc
	s_waitcnt vmcnt(16)
	v_mul_f32_e32 v3, 0.5, v10
	global_store_dword v[1:2], v3, off
	buffer_load_dword v1, off, s[0:3], 0 offset:404
	v_add_u32_e32 v8, s33, v8
	v_lshlrev_b64 v[2:3], 2, v[8:9]
	v_mov_b32_e32 v5, s41
	v_add_co_u32_e32 v2, vcc, s40, v2
	v_addc_co_u32_e32 v3, vcc, v5, v3, vcc
	s_waitcnt vmcnt(16)
	v_mul_f32_e32 v4, 0.5, v11
	v_add_u32_e32 v8, s33, v8
	global_store_dword v[2:3], v4, off
	v_lshlrev_b64 v[3:4], 2, v[8:9]
	buffer_load_dword v2, off, s[0:3], 0 offset:408
	v_mov_b32_e32 v6, s41
	v_add_co_u32_e32 v3, vcc, s40, v3
	s_waitcnt vmcnt(16)
	v_mul_f32_e32 v5, 0.5, v12
	v_addc_co_u32_e32 v4, vcc, v6, v4, vcc
	global_store_dword v[3:4], v5, off
	buffer_load_dword v3, off, s[0:3], 0 offset:412
	v_add_u32_e32 v8, s33, v8
	v_lshlrev_b64 v[4:5], 2, v[8:9]
	v_mov_b32_e32 v7, s41
	v_add_co_u32_e32 v4, vcc, s40, v4
	s_waitcnt vmcnt(17)
	v_mul_f32_e32 v6, 0.5, v13
	v_addc_co_u32_e32 v5, vcc, v7, v5, vcc
	v_add_u32_e32 v8, s33, v8
	global_store_dword v[4:5], v6, off
	buffer_load_dword v4, off, s[0:3], 0 offset:416
	v_lshlrev_b64 v[5:6], 2, v[8:9]
	v_mov_b32_e32 v10, s41
	v_add_co_u32_e32 v5, vcc, s40, v5
	s_waitcnt vmcnt(18)
	v_mul_f32_e32 v7, 0.5, v14
	v_addc_co_u32_e32 v6, vcc, v10, v6, vcc
	v_add_u32_e32 v8, s33, v8
	global_store_dword v[5:6], v7, off
	buffer_load_dword v5, off, s[0:3], 0 offset:420
	;; [unrolled: 9-line block ×3, first 2 shown]
	v_lshlrev_b64 v[10:11], 2, v[8:9]
	v_mov_b32_e32 v12, s41
	v_add_co_u32_e32 v10, vcc, s40, v10
	s_waitcnt vmcnt(20)
	v_mul_f32_e32 v7, 0.5, v16
	v_addc_co_u32_e32 v11, vcc, v12, v11, vcc
	global_store_dword v[10:11], v7, off
	buffer_load_dword v7, off, s[0:3], 0 offset:428
	v_add_u32_e32 v8, s33, v8
	v_lshlrev_b64 v[10:11], 2, v[8:9]
	v_mov_b32_e32 v13, s41
	v_add_co_u32_e32 v10, vcc, s40, v10
	s_waitcnt vmcnt(21)
	v_mul_f32_e32 v12, 0.5, v17
	v_addc_co_u32_e32 v11, vcc, v13, v11, vcc
	v_add_u32_e32 v8, s33, v8
	global_store_dword v[10:11], v12, off
	buffer_load_dword v10, off, s[0:3], 0 offset:432
	v_lshlrev_b64 v[11:12], 2, v[8:9]
	s_waitcnt vmcnt(16)
	v_mul_f32_e32 v0, 0.5, v0
	v_add_co_u32_e32 v11, vcc, s40, v11
	v_addc_co_u32_e32 v12, vcc, v13, v12, vcc
	global_store_dword v[11:12], v0, off
	buffer_load_dword v11, off, s[0:3], 0 offset:436
	v_add_u32_e32 v8, s33, v8
	s_waitcnt vmcnt(16)
	v_mul_f32_e32 v12, 0.5, v1
	v_lshlrev_b64 v[0:1], 2, v[8:9]
	v_add_u32_e32 v8, s33, v8
	v_add_co_u32_e32 v0, vcc, s40, v0
	v_addc_co_u32_e32 v1, vcc, v13, v1, vcc
	global_store_dword v[0:1], v12, off
	buffer_load_dword v12, off, s[0:3], 0 offset:440
	v_lshlrev_b64 v[0:1], 2, v[8:9]
	buffer_load_dword v14, off, s[0:3], 0 offset:448
	buffer_load_dword v15, off, s[0:3], 0 offset:452
	;; [unrolled: 1-line block ×4, first 2 shown]
	v_add_co_u32_e32 v0, vcc, s40, v0
	v_addc_co_u32_e32 v1, vcc, v13, v1, vcc
	buffer_load_dword v13, off, s[0:3], 0 offset:444
	s_waitcnt vmcnt(21)
	v_mul_f32_e32 v2, 0.5, v2
	v_add_u32_e32 v8, s33, v8
	global_store_dword v[0:1], v2, off
	v_lshlrev_b64 v[0:1], 2, v[8:9]
	s_waitcnt vmcnt(20)
	v_mul_f32_e32 v2, 0.5, v3
	v_mov_b32_e32 v3, s41
	v_add_co_u32_e32 v0, vcc, s40, v0
	v_addc_co_u32_e32 v1, vcc, v3, v1, vcc
	v_add_u32_e32 v8, s33, v8
	global_store_dword v[0:1], v2, off
	v_lshlrev_b64 v[0:1], 2, v[8:9]
	s_waitcnt vmcnt(19)
	v_mul_f32_e32 v2, 0.5, v4
	v_add_co_u32_e32 v0, vcc, s40, v0
	v_addc_co_u32_e32 v1, vcc, v3, v1, vcc
	v_add_u32_e32 v8, s33, v8
	global_store_dword v[0:1], v2, off
	v_lshlrev_b64 v[0:1], 2, v[8:9]
	s_waitcnt vmcnt(18)
	v_mul_f32_e32 v2, 0.5, v5
	v_add_co_u32_e32 v0, vcc, s40, v0
	v_addc_co_u32_e32 v1, vcc, v3, v1, vcc
	v_add_u32_e32 v8, s33, v8
	global_store_dword v[0:1], v2, off
	v_lshlrev_b64 v[0:1], 2, v[8:9]
	v_add_u32_e32 v8, s33, v8
	v_add_co_u32_e32 v0, vcc, s40, v0
	s_waitcnt vmcnt(17)
	v_mul_f32_e32 v2, 0.5, v6
	v_addc_co_u32_e32 v1, vcc, v3, v1, vcc
	global_store_dword v[0:1], v2, off
	v_lshlrev_b64 v[0:1], 2, v[8:9]
	v_add_u32_e32 v8, s33, v8
	v_add_co_u32_e32 v0, vcc, s40, v0
	s_waitcnt vmcnt(16)
	v_mul_f32_e32 v2, 0.5, v7
	v_addc_co_u32_e32 v1, vcc, v3, v1, vcc
	global_store_dword v[0:1], v2, off
	buffer_load_dword v0, off, s[0:3], 0 offset:464
	v_lshlrev_b64 v[1:2], 2, v[8:9]
	v_mov_b32_e32 v4, s41
	v_add_co_u32_e32 v1, vcc, s40, v1
	v_addc_co_u32_e32 v2, vcc, v4, v2, vcc
	s_waitcnt vmcnt(16)
	v_mul_f32_e32 v3, 0.5, v10
	v_add_u32_e32 v8, s33, v8
	global_store_dword v[1:2], v3, off
	v_lshlrev_b64 v[2:3], 2, v[8:9]
	v_mov_b32_e32 v5, s41
	v_add_co_u32_e32 v2, vcc, s40, v2
	buffer_load_dword v1, off, s[0:3], 0 offset:468
	s_waitcnt vmcnt(16)
	v_mul_f32_e32 v4, 0.5, v11
	v_addc_co_u32_e32 v3, vcc, v5, v3, vcc
	global_store_dword v[2:3], v4, off
	buffer_load_dword v2, off, s[0:3], 0 offset:472
	v_add_u32_e32 v8, s33, v8
	v_lshlrev_b64 v[3:4], 2, v[8:9]
	v_mov_b32_e32 v6, s41
	v_add_co_u32_e32 v3, vcc, s40, v3
	s_waitcnt vmcnt(16)
	v_mul_f32_e32 v5, 0.5, v12
	v_addc_co_u32_e32 v4, vcc, v6, v4, vcc
	v_add_u32_e32 v8, s33, v8
	global_store_dword v[3:4], v5, off
	v_lshlrev_b64 v[4:5], 2, v[8:9]
	buffer_load_dword v3, off, s[0:3], 0 offset:476
	v_mov_b32_e32 v7, s41
	v_add_co_u32_e32 v4, vcc, s40, v4
	s_waitcnt vmcnt(13)
	v_mul_f32_e32 v6, 0.5, v13
	v_addc_co_u32_e32 v5, vcc, v7, v5, vcc
	v_add_u32_e32 v8, s33, v8
	global_store_dword v[4:5], v6, off
	buffer_load_dword v4, off, s[0:3], 0 offset:480
	v_lshlrev_b64 v[5:6], 2, v[8:9]
	v_mov_b32_e32 v10, s41
	v_add_co_u32_e32 v5, vcc, s40, v5
	v_mul_f32_e32 v7, 0.5, v14
	v_addc_co_u32_e32 v6, vcc, v10, v6, vcc
	global_store_dword v[5:6], v7, off
	buffer_load_dword v5, off, s[0:3], 0 offset:484
	v_add_u32_e32 v8, s33, v8
	v_lshlrev_b64 v[6:7], 2, v[8:9]
	v_mov_b32_e32 v11, s41
	v_add_co_u32_e32 v6, vcc, s40, v6
	v_mul_f32_e32 v10, 0.5, v15
	v_addc_co_u32_e32 v7, vcc, v11, v7, vcc
	v_add_u32_e32 v8, s33, v8
	global_store_dword v[6:7], v10, off
	v_lshlrev_b64 v[10:11], 2, v[8:9]
	buffer_load_dword v6, off, s[0:3], 0 offset:488
	v_mov_b32_e32 v12, s41
	v_add_co_u32_e32 v10, vcc, s40, v10
	v_mul_f32_e32 v7, 0.5, v16
	v_addc_co_u32_e32 v11, vcc, v12, v11, vcc
	v_add_u32_e32 v8, s33, v8
	global_store_dword v[10:11], v7, off
	v_lshlrev_b64 v[10:11], 2, v[8:9]
	buffer_load_dword v7, off, s[0:3], 0 offset:492
	v_mov_b32_e32 v13, s41
	v_add_co_u32_e32 v10, vcc, s40, v10
	v_mul_f32_e32 v12, 0.5, v17
	v_addc_co_u32_e32 v11, vcc, v13, v11, vcc
	v_add_u32_e32 v8, s33, v8
	global_store_dword v[10:11], v12, off
	v_lshlrev_b64 v[11:12], 2, v[8:9]
	buffer_load_dword v10, off, s[0:3], 0 offset:496
	buffer_load_dword v14, off, s[0:3], 0 offset:504
	s_waitcnt vmcnt(17)
	v_mul_f32_e32 v13, 0.5, v0
	v_mov_b32_e32 v0, s41
	v_add_co_u32_e32 v11, vcc, s40, v11
	v_addc_co_u32_e32 v12, vcc, v0, v12, vcc
	buffer_load_dword v0, off, s[0:3], 0 offset:500
	v_add_u32_e32 v8, s33, v8
	global_store_dword v[11:12], v13, off
	v_lshlrev_b64 v[11:12], 2, v[8:9]
	v_mov_b32_e32 v13, s41
	v_add_co_u32_e32 v11, vcc, s40, v11
	s_waitcnt vmcnt(17)
	v_mul_f32_e32 v1, 0.5, v1
	v_addc_co_u32_e32 v12, vcc, v13, v12, vcc
	v_add_u32_e32 v8, s33, v8
	buffer_load_dword v13, off, s[0:3], 0 offset:508
	s_waitcnt vmcnt(14)
	v_mul_f32_e32 v3, 0.5, v3
	global_store_dword v[11:12], v1, off
	v_mul_f32_e32 v11, 0.5, v2
	v_lshlrev_b64 v[1:2], 2, v[8:9]
	v_mov_b32_e32 v12, s41
	v_add_co_u32_e32 v1, vcc, s40, v1
	v_addc_co_u32_e32 v2, vcc, v12, v2, vcc
	v_add_u32_e32 v8, s33, v8
	buffer_load_dword v12, off, s[0:3], 0 offset:512
	s_nop 0
	global_store_dword v[1:2], v11, off
	v_lshlrev_b64 v[1:2], 2, v[8:9]
	v_mov_b32_e32 v11, s41
	v_add_co_u32_e32 v1, vcc, s40, v1
	v_addc_co_u32_e32 v2, vcc, v11, v2, vcc
	v_add_u32_e32 v8, s33, v8
	buffer_load_dword v11, off, s[0:3], 0 offset:516
	s_nop 0
	global_store_dword v[1:2], v3, off
	v_lshlrev_b64 v[1:2], 2, v[8:9]
	s_waitcnt vmcnt(17)
	v_mul_f32_e32 v3, 0.5, v4
	v_mov_b32_e32 v4, s41
	v_add_co_u32_e32 v1, vcc, s40, v1
	v_addc_co_u32_e32 v2, vcc, v4, v2, vcc
	v_add_u32_e32 v8, s33, v8
	buffer_load_dword v4, off, s[0:3], 0 offset:520
	s_nop 0
	global_store_dword v[1:2], v3, off
	v_lshlrev_b64 v[1:2], 2, v[8:9]
	s_waitcnt vmcnt(17)
	v_mul_f32_e32 v3, 0.5, v5
	v_mov_b32_e32 v5, s41
	v_add_co_u32_e32 v1, vcc, s40, v1
	v_addc_co_u32_e32 v2, vcc, v5, v2, vcc
	buffer_load_dword v5, off, s[0:3], 0 offset:524
	v_add_u32_e32 v8, s33, v8
	global_store_dword v[1:2], v3, off
	v_lshlrev_b64 v[1:2], 2, v[8:9]
	s_waitcnt vmcnt(17)
	v_mul_f32_e32 v3, 0.5, v6
	v_mov_b32_e32 v6, s41
	v_add_co_u32_e32 v1, vcc, s40, v1
	v_addc_co_u32_e32 v2, vcc, v6, v2, vcc
	v_add_u32_e32 v8, s33, v8
	global_store_dword v[1:2], v3, off
	v_lshlrev_b64 v[1:2], 2, v[8:9]
	s_waitcnt vmcnt(16)
	v_mul_f32_e32 v3, 0.5, v7
	v_add_co_u32_e32 v1, vcc, s40, v1
	v_addc_co_u32_e32 v2, vcc, v6, v2, vcc
	v_add_u32_e32 v8, s33, v8
	global_store_dword v[1:2], v3, off
	v_lshlrev_b64 v[1:2], 2, v[8:9]
	s_waitcnt vmcnt(15)
	v_mul_f32_e32 v3, 0.5, v10
	v_add_co_u32_e32 v1, vcc, s40, v1
	v_addc_co_u32_e32 v2, vcc, v6, v2, vcc
	v_add_u32_e32 v8, s33, v8
	global_store_dword v[1:2], v3, off
	s_waitcnt vmcnt(14)
	v_mul_f32_e32 v2, 0.5, v0
	v_lshlrev_b64 v[0:1], 2, v[8:9]
	v_mov_b32_e32 v3, s41
	v_add_co_u32_e32 v0, vcc, s40, v0
	v_addc_co_u32_e32 v1, vcc, v3, v1, vcc
	v_add_u32_e32 v8, s33, v8
	global_store_dword v[0:1], v2, off
	v_lshlrev_b64 v[0:1], 2, v[8:9]
	v_mul_f32_e32 v2, 0.5, v14
	v_add_co_u32_e32 v0, vcc, s40, v0
	v_addc_co_u32_e32 v1, vcc, v3, v1, vcc
	v_add_u32_e32 v8, s33, v8
	global_store_dword v[0:1], v2, off
	v_lshlrev_b64 v[0:1], 2, v[8:9]
	s_waitcnt vmcnt(14)
	v_mul_f32_e32 v2, 0.5, v13
	v_add_co_u32_e32 v0, vcc, s40, v0
	v_addc_co_u32_e32 v1, vcc, v3, v1, vcc
	v_add_u32_e32 v8, s33, v8
	global_store_dword v[0:1], v2, off
	v_lshlrev_b64 v[0:1], 2, v[8:9]
	s_waitcnt vmcnt(13)
	;; [unrolled: 7-line block ×4, first 2 shown]
	v_mul_f32_e32 v2, 0.5, v4
	v_add_co_u32_e32 v0, vcc, s40, v0
	v_addc_co_u32_e32 v1, vcc, v3, v1, vcc
	v_add_u32_e32 v8, s33, v8
	global_store_dword v[0:1], v2, off
	v_lshlrev_b64 v[0:1], 2, v[8:9]
	v_add_co_u32_e32 v0, vcc, s40, v0
	s_waitcnt vmcnt(10)
	v_mul_f32_e32 v2, 0.5, v5
	v_addc_co_u32_e32 v1, vcc, v3, v1, vcc
	global_store_dword v[0:1], v2, off
.LBB7_36:
	s_endpgm
	.section	.rodata,"a",@progbits
	.p2align	6, 0x0
	.amdhsa_kernel _ZL11fasten_mainILm128EEviiPK4AtomS2_PKfS4_S4_S4_S4_S4_PfPK8FFParamsi
		.amdhsa_group_segment_fixed_size 0
		.amdhsa_private_segment_fixed_size 8208
		.amdhsa_kernarg_size 352
		.amdhsa_user_sgpr_count 6
		.amdhsa_user_sgpr_private_segment_buffer 1
		.amdhsa_user_sgpr_dispatch_ptr 0
		.amdhsa_user_sgpr_queue_ptr 0
		.amdhsa_user_sgpr_kernarg_segment_ptr 1
		.amdhsa_user_sgpr_dispatch_id 0
		.amdhsa_user_sgpr_flat_scratch_init 0
		.amdhsa_user_sgpr_private_segment_size 0
		.amdhsa_uses_dynamic_stack 0
		.amdhsa_system_sgpr_private_segment_wavefront_offset 1
		.amdhsa_system_sgpr_workgroup_id_x 1
		.amdhsa_system_sgpr_workgroup_id_y 0
		.amdhsa_system_sgpr_workgroup_id_z 0
		.amdhsa_system_sgpr_workgroup_info 0
		.amdhsa_system_vgpr_workitem_id 0
		.amdhsa_next_free_vgpr 55
		.amdhsa_next_free_sgpr 54
		.amdhsa_reserve_vcc 1
		.amdhsa_reserve_flat_scratch 0
		.amdhsa_float_round_mode_32 0
		.amdhsa_float_round_mode_16_64 0
		.amdhsa_float_denorm_mode_32 3
		.amdhsa_float_denorm_mode_16_64 3
		.amdhsa_dx10_clamp 1
		.amdhsa_ieee_mode 1
		.amdhsa_fp16_overflow 0
		.amdhsa_exception_fp_ieee_invalid_op 0
		.amdhsa_exception_fp_denorm_src 0
		.amdhsa_exception_fp_ieee_div_zero 0
		.amdhsa_exception_fp_ieee_overflow 0
		.amdhsa_exception_fp_ieee_underflow 0
		.amdhsa_exception_fp_ieee_inexact 0
		.amdhsa_exception_int_div_zero 0
	.end_amdhsa_kernel
	.section	.text._ZL11fasten_mainILm128EEviiPK4AtomS2_PKfS4_S4_S4_S4_S4_PfPK8FFParamsi,"axG",@progbits,_ZL11fasten_mainILm128EEviiPK4AtomS2_PKfS4_S4_S4_S4_S4_PfPK8FFParamsi,comdat
.Lfunc_end7:
	.size	_ZL11fasten_mainILm128EEviiPK4AtomS2_PKfS4_S4_S4_S4_S4_PfPK8FFParamsi, .Lfunc_end7-_ZL11fasten_mainILm128EEviiPK4AtomS2_PKfS4_S4_S4_S4_S4_PfPK8FFParamsi
                                        ; -- End function
	.set _ZL11fasten_mainILm128EEviiPK4AtomS2_PKfS4_S4_S4_S4_S4_PfPK8FFParamsi.num_vgpr, 55
	.set _ZL11fasten_mainILm128EEviiPK4AtomS2_PKfS4_S4_S4_S4_S4_PfPK8FFParamsi.num_agpr, 0
	.set _ZL11fasten_mainILm128EEviiPK4AtomS2_PKfS4_S4_S4_S4_S4_PfPK8FFParamsi.numbered_sgpr, 54
	.set _ZL11fasten_mainILm128EEviiPK4AtomS2_PKfS4_S4_S4_S4_S4_PfPK8FFParamsi.num_named_barrier, 0
	.set _ZL11fasten_mainILm128EEviiPK4AtomS2_PKfS4_S4_S4_S4_S4_PfPK8FFParamsi.private_seg_size, 8208
	.set _ZL11fasten_mainILm128EEviiPK4AtomS2_PKfS4_S4_S4_S4_S4_PfPK8FFParamsi.uses_vcc, 1
	.set _ZL11fasten_mainILm128EEviiPK4AtomS2_PKfS4_S4_S4_S4_S4_PfPK8FFParamsi.uses_flat_scratch, 0
	.set _ZL11fasten_mainILm128EEviiPK4AtomS2_PKfS4_S4_S4_S4_S4_PfPK8FFParamsi.has_dyn_sized_stack, 0
	.set _ZL11fasten_mainILm128EEviiPK4AtomS2_PKfS4_S4_S4_S4_S4_PfPK8FFParamsi.has_recursion, 0
	.set _ZL11fasten_mainILm128EEviiPK4AtomS2_PKfS4_S4_S4_S4_S4_PfPK8FFParamsi.has_indirect_call, 0
	.section	.AMDGPU.csdata,"",@progbits
; Kernel info:
; codeLenInByte = 13476
; TotalNumSgprs: 58
; NumVgprs: 55
; ScratchSize: 8208
; MemoryBound: 0
; FloatMode: 240
; IeeeMode: 1
; LDSByteSize: 0 bytes/workgroup (compile time only)
; SGPRBlocks: 7
; VGPRBlocks: 13
; NumSGPRsForWavesPerEU: 58
; NumVGPRsForWavesPerEU: 55
; Occupancy: 4
; WaveLimiterHint : 1
; COMPUTE_PGM_RSRC2:SCRATCH_EN: 1
; COMPUTE_PGM_RSRC2:USER_SGPR: 6
; COMPUTE_PGM_RSRC2:TRAP_HANDLER: 0
; COMPUTE_PGM_RSRC2:TGID_X_EN: 1
; COMPUTE_PGM_RSRC2:TGID_Y_EN: 0
; COMPUTE_PGM_RSRC2:TGID_Z_EN: 0
; COMPUTE_PGM_RSRC2:TIDIG_COMP_CNT: 0
	.section	.AMDGPU.gpr_maximums,"",@progbits
	.set amdgpu.max_num_vgpr, 0
	.set amdgpu.max_num_agpr, 0
	.set amdgpu.max_num_sgpr, 0
	.section	.AMDGPU.csdata,"",@progbits
	.type	__hip_cuid_4df05d1dd8ba319d,@object ; @__hip_cuid_4df05d1dd8ba319d
	.section	.bss,"aw",@nobits
	.globl	__hip_cuid_4df05d1dd8ba319d
__hip_cuid_4df05d1dd8ba319d:
	.byte	0                               ; 0x0
	.size	__hip_cuid_4df05d1dd8ba319d, 1

	.ident	"AMD clang version 22.0.0git (https://github.com/RadeonOpenCompute/llvm-project roc-7.2.4 26084 f58b06dce1f9c15707c5f808fd002e18c2accf7e)"
	.section	".note.GNU-stack","",@progbits
	.addrsig
	.addrsig_sym __hip_cuid_4df05d1dd8ba319d
	.amdgpu_metadata
---
amdhsa.kernels:
  - .args:
      - .offset:         0
        .size:           4
        .value_kind:     by_value
      - .offset:         4
        .size:           4
        .value_kind:     by_value
      - .address_space:  global
        .offset:         8
        .size:           8
        .value_kind:     global_buffer
      - .address_space:  global
        .offset:         16
        .size:           8
        .value_kind:     global_buffer
      - .address_space:  global
        .offset:         24
        .size:           8
        .value_kind:     global_buffer
      - .address_space:  global
        .offset:         32
        .size:           8
        .value_kind:     global_buffer
      - .address_space:  global
        .offset:         40
        .size:           8
        .value_kind:     global_buffer
      - .address_space:  global
        .offset:         48
        .size:           8
        .value_kind:     global_buffer
      - .address_space:  global
        .offset:         56
        .size:           8
        .value_kind:     global_buffer
      - .address_space:  global
        .offset:         64
        .size:           8
        .value_kind:     global_buffer
      - .address_space:  global
        .offset:         72
        .size:           8
        .value_kind:     global_buffer
      - .address_space:  global
        .offset:         80
        .size:           8
        .value_kind:     global_buffer
      - .offset:         88
        .size:           4
        .value_kind:     by_value
      - .offset:         96
        .size:           4
        .value_kind:     hidden_block_count_x
      - .offset:         100
        .size:           4
        .value_kind:     hidden_block_count_y
      - .offset:         104
        .size:           4
        .value_kind:     hidden_block_count_z
      - .offset:         108
        .size:           2
        .value_kind:     hidden_group_size_x
      - .offset:         110
        .size:           2
        .value_kind:     hidden_group_size_y
      - .offset:         112
        .size:           2
        .value_kind:     hidden_group_size_z
      - .offset:         114
        .size:           2
        .value_kind:     hidden_remainder_x
      - .offset:         116
        .size:           2
        .value_kind:     hidden_remainder_y
      - .offset:         118
        .size:           2
        .value_kind:     hidden_remainder_z
      - .offset:         136
        .size:           8
        .value_kind:     hidden_global_offset_x
      - .offset:         144
        .size:           8
        .value_kind:     hidden_global_offset_y
      - .offset:         152
        .size:           8
        .value_kind:     hidden_global_offset_z
      - .offset:         160
        .size:           2
        .value_kind:     hidden_grid_dims
    .group_segment_fixed_size: 0
    .kernarg_segment_align: 8
    .kernarg_segment_size: 352
    .language:       OpenCL C
    .language_version:
      - 2
      - 0
    .max_flat_workgroup_size: 1024
    .name:           _ZL11fasten_mainILm1EEviiPK4AtomS2_PKfS4_S4_S4_S4_S4_PfPK8FFParamsi
    .private_segment_fixed_size: 0
    .sgpr_count:     56
    .sgpr_spill_count: 0
    .symbol:         _ZL11fasten_mainILm1EEviiPK4AtomS2_PKfS4_S4_S4_S4_S4_PfPK8FFParamsi.kd
    .uniform_work_group_size: 1
    .uses_dynamic_stack: false
    .vgpr_count:     47
    .vgpr_spill_count: 0
    .wavefront_size: 64
  - .args:
      - .offset:         0
        .size:           4
        .value_kind:     by_value
      - .offset:         4
        .size:           4
        .value_kind:     by_value
      - .address_space:  global
        .offset:         8
        .size:           8
        .value_kind:     global_buffer
      - .address_space:  global
        .offset:         16
        .size:           8
        .value_kind:     global_buffer
      - .address_space:  global
        .offset:         24
        .size:           8
        .value_kind:     global_buffer
      - .address_space:  global
        .offset:         32
        .size:           8
        .value_kind:     global_buffer
      - .address_space:  global
        .offset:         40
        .size:           8
        .value_kind:     global_buffer
      - .address_space:  global
        .offset:         48
        .size:           8
        .value_kind:     global_buffer
      - .address_space:  global
        .offset:         56
        .size:           8
        .value_kind:     global_buffer
      - .address_space:  global
        .offset:         64
        .size:           8
        .value_kind:     global_buffer
      - .address_space:  global
        .offset:         72
        .size:           8
        .value_kind:     global_buffer
      - .address_space:  global
        .offset:         80
        .size:           8
        .value_kind:     global_buffer
      - .offset:         88
        .size:           4
        .value_kind:     by_value
      - .offset:         96
        .size:           4
        .value_kind:     hidden_block_count_x
      - .offset:         100
        .size:           4
        .value_kind:     hidden_block_count_y
      - .offset:         104
        .size:           4
        .value_kind:     hidden_block_count_z
      - .offset:         108
        .size:           2
        .value_kind:     hidden_group_size_x
      - .offset:         110
        .size:           2
        .value_kind:     hidden_group_size_y
      - .offset:         112
        .size:           2
        .value_kind:     hidden_group_size_z
      - .offset:         114
        .size:           2
        .value_kind:     hidden_remainder_x
      - .offset:         116
        .size:           2
        .value_kind:     hidden_remainder_y
      - .offset:         118
        .size:           2
        .value_kind:     hidden_remainder_z
      - .offset:         136
        .size:           8
        .value_kind:     hidden_global_offset_x
      - .offset:         144
        .size:           8
        .value_kind:     hidden_global_offset_y
      - .offset:         152
        .size:           8
        .value_kind:     hidden_global_offset_z
      - .offset:         160
        .size:           2
        .value_kind:     hidden_grid_dims
    .group_segment_fixed_size: 0
    .kernarg_segment_align: 8
    .kernarg_segment_size: 352
    .language:       OpenCL C
    .language_version:
      - 2
      - 0
    .max_flat_workgroup_size: 1024
    .name:           _ZL11fasten_mainILm2EEviiPK4AtomS2_PKfS4_S4_S4_S4_S4_PfPK8FFParamsi
    .private_segment_fixed_size: 128
    .sgpr_count:     57
    .sgpr_spill_count: 0
    .symbol:         _ZL11fasten_mainILm2EEviiPK4AtomS2_PKfS4_S4_S4_S4_S4_PfPK8FFParamsi.kd
    .uniform_work_group_size: 1
    .uses_dynamic_stack: false
    .vgpr_count:     63
    .vgpr_spill_count: 0
    .wavefront_size: 64
  - .args:
      - .offset:         0
        .size:           4
        .value_kind:     by_value
      - .offset:         4
        .size:           4
        .value_kind:     by_value
      - .address_space:  global
        .offset:         8
        .size:           8
        .value_kind:     global_buffer
      - .address_space:  global
        .offset:         16
        .size:           8
        .value_kind:     global_buffer
      - .address_space:  global
        .offset:         24
        .size:           8
        .value_kind:     global_buffer
      - .address_space:  global
        .offset:         32
        .size:           8
        .value_kind:     global_buffer
      - .address_space:  global
        .offset:         40
        .size:           8
        .value_kind:     global_buffer
      - .address_space:  global
        .offset:         48
        .size:           8
        .value_kind:     global_buffer
      - .address_space:  global
        .offset:         56
        .size:           8
        .value_kind:     global_buffer
      - .address_space:  global
        .offset:         64
        .size:           8
        .value_kind:     global_buffer
      - .address_space:  global
        .offset:         72
        .size:           8
        .value_kind:     global_buffer
      - .address_space:  global
        .offset:         80
        .size:           8
        .value_kind:     global_buffer
      - .offset:         88
        .size:           4
        .value_kind:     by_value
      - .offset:         96
        .size:           4
        .value_kind:     hidden_block_count_x
      - .offset:         100
        .size:           4
        .value_kind:     hidden_block_count_y
      - .offset:         104
        .size:           4
        .value_kind:     hidden_block_count_z
      - .offset:         108
        .size:           2
        .value_kind:     hidden_group_size_x
      - .offset:         110
        .size:           2
        .value_kind:     hidden_group_size_y
      - .offset:         112
        .size:           2
        .value_kind:     hidden_group_size_z
      - .offset:         114
        .size:           2
        .value_kind:     hidden_remainder_x
      - .offset:         116
        .size:           2
        .value_kind:     hidden_remainder_y
      - .offset:         118
        .size:           2
        .value_kind:     hidden_remainder_z
      - .offset:         136
        .size:           8
        .value_kind:     hidden_global_offset_x
      - .offset:         144
        .size:           8
        .value_kind:     hidden_global_offset_y
      - .offset:         152
        .size:           8
        .value_kind:     hidden_global_offset_z
      - .offset:         160
        .size:           2
        .value_kind:     hidden_grid_dims
    .group_segment_fixed_size: 0
    .kernarg_segment_align: 8
    .kernarg_segment_size: 352
    .language:       OpenCL C
    .language_version:
      - 2
      - 0
    .max_flat_workgroup_size: 1024
    .name:           _ZL11fasten_mainILm4EEviiPK4AtomS2_PKfS4_S4_S4_S4_S4_PfPK8FFParamsi
    .private_segment_fixed_size: 320
    .sgpr_count:     55
    .sgpr_spill_count: 0
    .symbol:         _ZL11fasten_mainILm4EEviiPK4AtomS2_PKfS4_S4_S4_S4_S4_PfPK8FFParamsi.kd
    .uniform_work_group_size: 1
    .uses_dynamic_stack: false
    .vgpr_count:     64
    .vgpr_spill_count: 26
    .wavefront_size: 64
  - .args:
      - .offset:         0
        .size:           4
        .value_kind:     by_value
      - .offset:         4
        .size:           4
        .value_kind:     by_value
      - .address_space:  global
        .offset:         8
        .size:           8
        .value_kind:     global_buffer
      - .address_space:  global
        .offset:         16
        .size:           8
        .value_kind:     global_buffer
      - .address_space:  global
        .offset:         24
        .size:           8
        .value_kind:     global_buffer
      - .address_space:  global
        .offset:         32
        .size:           8
        .value_kind:     global_buffer
      - .address_space:  global
        .offset:         40
        .size:           8
        .value_kind:     global_buffer
      - .address_space:  global
        .offset:         48
        .size:           8
        .value_kind:     global_buffer
      - .address_space:  global
        .offset:         56
        .size:           8
        .value_kind:     global_buffer
      - .address_space:  global
        .offset:         64
        .size:           8
        .value_kind:     global_buffer
      - .address_space:  global
        .offset:         72
        .size:           8
        .value_kind:     global_buffer
      - .address_space:  global
        .offset:         80
        .size:           8
        .value_kind:     global_buffer
      - .offset:         88
        .size:           4
        .value_kind:     by_value
      - .offset:         96
        .size:           4
        .value_kind:     hidden_block_count_x
      - .offset:         100
        .size:           4
        .value_kind:     hidden_block_count_y
      - .offset:         104
        .size:           4
        .value_kind:     hidden_block_count_z
      - .offset:         108
        .size:           2
        .value_kind:     hidden_group_size_x
      - .offset:         110
        .size:           2
        .value_kind:     hidden_group_size_y
      - .offset:         112
        .size:           2
        .value_kind:     hidden_group_size_z
      - .offset:         114
        .size:           2
        .value_kind:     hidden_remainder_x
      - .offset:         116
        .size:           2
        .value_kind:     hidden_remainder_y
      - .offset:         118
        .size:           2
        .value_kind:     hidden_remainder_z
      - .offset:         136
        .size:           8
        .value_kind:     hidden_global_offset_x
      - .offset:         144
        .size:           8
        .value_kind:     hidden_global_offset_y
      - .offset:         152
        .size:           8
        .value_kind:     hidden_global_offset_z
      - .offset:         160
        .size:           2
        .value_kind:     hidden_grid_dims
    .group_segment_fixed_size: 0
    .kernarg_segment_align: 8
    .kernarg_segment_size: 352
    .language:       OpenCL C
    .language_version:
      - 2
      - 0
    .max_flat_workgroup_size: 1024
    .name:           _ZL11fasten_mainILm8EEviiPK4AtomS2_PKfS4_S4_S4_S4_S4_PfPK8FFParamsi
    .private_segment_fixed_size: 784
    .sgpr_count:     56
    .sgpr_spill_count: 0
    .symbol:         _ZL11fasten_mainILm8EEviiPK4AtomS2_PKfS4_S4_S4_S4_S4_PfPK8FFParamsi.kd
    .uniform_work_group_size: 1
    .uses_dynamic_stack: false
    .vgpr_count:     64
    .vgpr_spill_count: 90
    .wavefront_size: 64
  - .args:
      - .offset:         0
        .size:           4
        .value_kind:     by_value
      - .offset:         4
        .size:           4
        .value_kind:     by_value
      - .address_space:  global
        .offset:         8
        .size:           8
        .value_kind:     global_buffer
      - .address_space:  global
        .offset:         16
        .size:           8
        .value_kind:     global_buffer
      - .address_space:  global
        .offset:         24
        .size:           8
        .value_kind:     global_buffer
      - .address_space:  global
        .offset:         32
        .size:           8
        .value_kind:     global_buffer
      - .address_space:  global
        .offset:         40
        .size:           8
        .value_kind:     global_buffer
      - .address_space:  global
        .offset:         48
        .size:           8
        .value_kind:     global_buffer
      - .address_space:  global
        .offset:         56
        .size:           8
        .value_kind:     global_buffer
      - .address_space:  global
        .offset:         64
        .size:           8
        .value_kind:     global_buffer
      - .address_space:  global
        .offset:         72
        .size:           8
        .value_kind:     global_buffer
      - .address_space:  global
        .offset:         80
        .size:           8
        .value_kind:     global_buffer
      - .offset:         88
        .size:           4
        .value_kind:     by_value
      - .offset:         96
        .size:           4
        .value_kind:     hidden_block_count_x
      - .offset:         100
        .size:           4
        .value_kind:     hidden_block_count_y
      - .offset:         104
        .size:           4
        .value_kind:     hidden_block_count_z
      - .offset:         108
        .size:           2
        .value_kind:     hidden_group_size_x
      - .offset:         110
        .size:           2
        .value_kind:     hidden_group_size_y
      - .offset:         112
        .size:           2
        .value_kind:     hidden_group_size_z
      - .offset:         114
        .size:           2
        .value_kind:     hidden_remainder_x
      - .offset:         116
        .size:           2
        .value_kind:     hidden_remainder_y
      - .offset:         118
        .size:           2
        .value_kind:     hidden_remainder_z
      - .offset:         136
        .size:           8
        .value_kind:     hidden_global_offset_x
      - .offset:         144
        .size:           8
        .value_kind:     hidden_global_offset_y
      - .offset:         152
        .size:           8
        .value_kind:     hidden_global_offset_z
      - .offset:         160
        .size:           2
        .value_kind:     hidden_grid_dims
    .group_segment_fixed_size: 0
    .kernarg_segment_align: 8
    .kernarg_segment_size: 352
    .language:       OpenCL C
    .language_version:
      - 2
      - 0
    .max_flat_workgroup_size: 1024
    .name:           _ZL11fasten_mainILm16EEviiPK4AtomS2_PKfS4_S4_S4_S4_S4_PfPK8FFParamsi
    .private_segment_fixed_size: 1712
    .sgpr_count:     56
    .sgpr_spill_count: 0
    .symbol:         _ZL11fasten_mainILm16EEviiPK4AtomS2_PKfS4_S4_S4_S4_S4_PfPK8FFParamsi.kd
    .uniform_work_group_size: 1
    .uses_dynamic_stack: false
    .vgpr_count:     64
    .vgpr_spill_count: 217
    .wavefront_size: 64
  - .args:
      - .offset:         0
        .size:           4
        .value_kind:     by_value
      - .offset:         4
        .size:           4
        .value_kind:     by_value
      - .address_space:  global
        .offset:         8
        .size:           8
        .value_kind:     global_buffer
      - .address_space:  global
        .offset:         16
        .size:           8
        .value_kind:     global_buffer
      - .address_space:  global
        .offset:         24
        .size:           8
        .value_kind:     global_buffer
      - .address_space:  global
        .offset:         32
        .size:           8
        .value_kind:     global_buffer
      - .address_space:  global
        .offset:         40
        .size:           8
        .value_kind:     global_buffer
      - .address_space:  global
        .offset:         48
        .size:           8
        .value_kind:     global_buffer
      - .address_space:  global
        .offset:         56
        .size:           8
        .value_kind:     global_buffer
      - .address_space:  global
        .offset:         64
        .size:           8
        .value_kind:     global_buffer
      - .address_space:  global
        .offset:         72
        .size:           8
        .value_kind:     global_buffer
      - .address_space:  global
        .offset:         80
        .size:           8
        .value_kind:     global_buffer
      - .offset:         88
        .size:           4
        .value_kind:     by_value
      - .offset:         96
        .size:           4
        .value_kind:     hidden_block_count_x
      - .offset:         100
        .size:           4
        .value_kind:     hidden_block_count_y
      - .offset:         104
        .size:           4
        .value_kind:     hidden_block_count_z
      - .offset:         108
        .size:           2
        .value_kind:     hidden_group_size_x
      - .offset:         110
        .size:           2
        .value_kind:     hidden_group_size_y
      - .offset:         112
        .size:           2
        .value_kind:     hidden_group_size_z
      - .offset:         114
        .size:           2
        .value_kind:     hidden_remainder_x
      - .offset:         116
        .size:           2
        .value_kind:     hidden_remainder_y
      - .offset:         118
        .size:           2
        .value_kind:     hidden_remainder_z
      - .offset:         136
        .size:           8
        .value_kind:     hidden_global_offset_x
      - .offset:         144
        .size:           8
        .value_kind:     hidden_global_offset_y
      - .offset:         152
        .size:           8
        .value_kind:     hidden_global_offset_z
      - .offset:         160
        .size:           2
        .value_kind:     hidden_grid_dims
    .group_segment_fixed_size: 0
    .kernarg_segment_align: 8
    .kernarg_segment_size: 352
    .language:       OpenCL C
    .language_version:
      - 2
      - 0
    .max_flat_workgroup_size: 1024
    .name:           _ZL11fasten_mainILm32EEviiPK4AtomS2_PKfS4_S4_S4_S4_S4_PfPK8FFParamsi
    .private_segment_fixed_size: 3232
    .sgpr_count:     56
    .sgpr_spill_count: 0
    .symbol:         _ZL11fasten_mainILm32EEviiPK4AtomS2_PKfS4_S4_S4_S4_S4_PfPK8FFParamsi.kd
    .uniform_work_group_size: 1
    .uses_dynamic_stack: false
    .vgpr_count:     64
    .vgpr_spill_count: 389
    .wavefront_size: 64
  - .args:
      - .offset:         0
        .size:           4
        .value_kind:     by_value
      - .offset:         4
        .size:           4
        .value_kind:     by_value
      - .address_space:  global
        .offset:         8
        .size:           8
        .value_kind:     global_buffer
      - .address_space:  global
        .offset:         16
        .size:           8
        .value_kind:     global_buffer
      - .address_space:  global
        .offset:         24
        .size:           8
        .value_kind:     global_buffer
      - .address_space:  global
        .offset:         32
        .size:           8
        .value_kind:     global_buffer
      - .address_space:  global
        .offset:         40
        .size:           8
        .value_kind:     global_buffer
      - .address_space:  global
        .offset:         48
        .size:           8
        .value_kind:     global_buffer
      - .address_space:  global
        .offset:         56
        .size:           8
        .value_kind:     global_buffer
      - .address_space:  global
        .offset:         64
        .size:           8
        .value_kind:     global_buffer
      - .address_space:  global
        .offset:         72
        .size:           8
        .value_kind:     global_buffer
      - .address_space:  global
        .offset:         80
        .size:           8
        .value_kind:     global_buffer
      - .offset:         88
        .size:           4
        .value_kind:     by_value
      - .offset:         96
        .size:           4
        .value_kind:     hidden_block_count_x
      - .offset:         100
        .size:           4
        .value_kind:     hidden_block_count_y
      - .offset:         104
        .size:           4
        .value_kind:     hidden_block_count_z
      - .offset:         108
        .size:           2
        .value_kind:     hidden_group_size_x
      - .offset:         110
        .size:           2
        .value_kind:     hidden_group_size_y
      - .offset:         112
        .size:           2
        .value_kind:     hidden_group_size_z
      - .offset:         114
        .size:           2
        .value_kind:     hidden_remainder_x
      - .offset:         116
        .size:           2
        .value_kind:     hidden_remainder_y
      - .offset:         118
        .size:           2
        .value_kind:     hidden_remainder_z
      - .offset:         136
        .size:           8
        .value_kind:     hidden_global_offset_x
      - .offset:         144
        .size:           8
        .value_kind:     hidden_global_offset_y
      - .offset:         152
        .size:           8
        .value_kind:     hidden_global_offset_z
      - .offset:         160
        .size:           2
        .value_kind:     hidden_grid_dims
    .group_segment_fixed_size: 0
    .kernarg_segment_align: 8
    .kernarg_segment_size: 352
    .language:       OpenCL C
    .language_version:
      - 2
      - 0
    .max_flat_workgroup_size: 1024
    .name:           _ZL11fasten_mainILm64EEviiPK4AtomS2_PKfS4_S4_S4_S4_S4_PfPK8FFParamsi
    .private_segment_fixed_size: 5424
    .sgpr_count:     56
    .sgpr_spill_count: 0
    .symbol:         _ZL11fasten_mainILm64EEviiPK4AtomS2_PKfS4_S4_S4_S4_S4_PfPK8FFParamsi.kd
    .uniform_work_group_size: 1
    .uses_dynamic_stack: false
    .vgpr_count:     64
    .vgpr_spill_count: 536
    .wavefront_size: 64
  - .args:
      - .offset:         0
        .size:           4
        .value_kind:     by_value
      - .offset:         4
        .size:           4
        .value_kind:     by_value
      - .address_space:  global
        .offset:         8
        .size:           8
        .value_kind:     global_buffer
      - .address_space:  global
        .offset:         16
        .size:           8
        .value_kind:     global_buffer
      - .address_space:  global
        .offset:         24
        .size:           8
        .value_kind:     global_buffer
      - .address_space:  global
        .offset:         32
        .size:           8
        .value_kind:     global_buffer
      - .address_space:  global
        .offset:         40
        .size:           8
        .value_kind:     global_buffer
      - .address_space:  global
        .offset:         48
        .size:           8
        .value_kind:     global_buffer
      - .address_space:  global
        .offset:         56
        .size:           8
        .value_kind:     global_buffer
      - .address_space:  global
        .offset:         64
        .size:           8
        .value_kind:     global_buffer
      - .address_space:  global
        .offset:         72
        .size:           8
        .value_kind:     global_buffer
      - .address_space:  global
        .offset:         80
        .size:           8
        .value_kind:     global_buffer
      - .offset:         88
        .size:           4
        .value_kind:     by_value
      - .offset:         96
        .size:           4
        .value_kind:     hidden_block_count_x
      - .offset:         100
        .size:           4
        .value_kind:     hidden_block_count_y
      - .offset:         104
        .size:           4
        .value_kind:     hidden_block_count_z
      - .offset:         108
        .size:           2
        .value_kind:     hidden_group_size_x
      - .offset:         110
        .size:           2
        .value_kind:     hidden_group_size_y
      - .offset:         112
        .size:           2
        .value_kind:     hidden_group_size_z
      - .offset:         114
        .size:           2
        .value_kind:     hidden_remainder_x
      - .offset:         116
        .size:           2
        .value_kind:     hidden_remainder_y
      - .offset:         118
        .size:           2
        .value_kind:     hidden_remainder_z
      - .offset:         136
        .size:           8
        .value_kind:     hidden_global_offset_x
      - .offset:         144
        .size:           8
        .value_kind:     hidden_global_offset_y
      - .offset:         152
        .size:           8
        .value_kind:     hidden_global_offset_z
      - .offset:         160
        .size:           2
        .value_kind:     hidden_grid_dims
    .group_segment_fixed_size: 0
    .kernarg_segment_align: 8
    .kernarg_segment_size: 352
    .language:       OpenCL C
    .language_version:
      - 2
      - 0
    .max_flat_workgroup_size: 1024
    .name:           _ZL11fasten_mainILm128EEviiPK4AtomS2_PKfS4_S4_S4_S4_S4_PfPK8FFParamsi
    .private_segment_fixed_size: 8208
    .sgpr_count:     58
    .sgpr_spill_count: 0
    .symbol:         _ZL11fasten_mainILm128EEviiPK4AtomS2_PKfS4_S4_S4_S4_S4_PfPK8FFParamsi.kd
    .uniform_work_group_size: 1
    .uses_dynamic_stack: false
    .vgpr_count:     55
    .vgpr_spill_count: 0
    .wavefront_size: 64
amdhsa.target:   amdgcn-amd-amdhsa--gfx906
amdhsa.version:
  - 1
  - 2
...

	.end_amdgpu_metadata
